;; amdgpu-corpus repo=ROCm/hipCUB kind=compiled arch=gfx90a opt=O3
	.text
	.amdgcn_target "amdgcn-amd-amdhsa--gfx90a"
	.amdhsa_code_object_version 6
	.section	.text._Z6kernelI13subtract_leftLj256ELj1ELb0EJPiS1_jEEvDpT3_,"axG",@progbits,_Z6kernelI13subtract_leftLj256ELj1ELb0EJPiS1_jEEvDpT3_,comdat
	.protected	_Z6kernelI13subtract_leftLj256ELj1ELb0EJPiS1_jEEvDpT3_ ; -- Begin function _Z6kernelI13subtract_leftLj256ELj1ELb0EJPiS1_jEEvDpT3_
	.globl	_Z6kernelI13subtract_leftLj256ELj1ELb0EJPiS1_jEEvDpT3_
	.p2align	8
	.type	_Z6kernelI13subtract_leftLj256ELj1ELb0EJPiS1_jEEvDpT3_,@function
_Z6kernelI13subtract_leftLj256ELj1ELb0EJPiS1_jEEvDpT3_: ; @_Z6kernelI13subtract_leftLj256ELj1ELb0EJPiS1_jEEvDpT3_
; %bb.0:
	s_load_dwordx4 s[0:3], s[4:5], 0x0
	s_load_dword s7, s[4:5], 0x10
	s_lshl_b32 s4, s6, 8
	s_mov_b32 s5, 0
	s_lshl_b64 s[4:5], s[4:5], 2
	s_waitcnt lgkmcnt(0)
	s_add_u32 s0, s0, s4
	s_addc_u32 s1, s1, s5
	v_lshlrev_b32_e32 v1, 2, v0
	global_load_dword v2, v1, s[0:1]
	s_cmp_eq_u32 s7, 0
	s_cbranch_scc1 .LBB0_5
; %bb.1:
	v_cmp_ne_u32_e32 vcc, 0, v0
	v_add_u32_e32 v0, -4, v1
	s_branch .LBB0_3
.LBB0_2:                                ;   in Loop: Header=BB0_3 Depth=1
	s_or_b64 exec, exec, s[0:1]
	s_add_i32 s7, s7, -1
	v_add_u32_e32 v2, v3, v2
	s_cmp_lg_u32 s7, 0
	s_barrier
	s_cbranch_scc0 .LBB0_5
.LBB0_3:                                ; =>This Inner Loop Header: Depth=1
	s_waitcnt vmcnt(0)
	v_mov_b32_e32 v3, v2
	ds_write_b32 v1, v2
	s_waitcnt lgkmcnt(0)
	s_barrier
	s_and_saveexec_b64 s[0:1], vcc
	s_cbranch_execz .LBB0_2
; %bb.4:                                ;   in Loop: Header=BB0_3 Depth=1
	ds_read_b32 v3, v0
	s_waitcnt lgkmcnt(0)
	v_sub_u32_e32 v3, v2, v3
	s_branch .LBB0_2
.LBB0_5:
	s_add_u32 s0, s2, s4
	s_addc_u32 s1, s3, s5
	s_waitcnt vmcnt(0)
	global_store_dword v1, v2, s[0:1]
	s_endpgm
	.section	.rodata,"a",@progbits
	.p2align	6, 0x0
	.amdhsa_kernel _Z6kernelI13subtract_leftLj256ELj1ELb0EJPiS1_jEEvDpT3_
		.amdhsa_group_segment_fixed_size 2048
		.amdhsa_private_segment_fixed_size 0
		.amdhsa_kernarg_size 20
		.amdhsa_user_sgpr_count 6
		.amdhsa_user_sgpr_private_segment_buffer 1
		.amdhsa_user_sgpr_dispatch_ptr 0
		.amdhsa_user_sgpr_queue_ptr 0
		.amdhsa_user_sgpr_kernarg_segment_ptr 1
		.amdhsa_user_sgpr_dispatch_id 0
		.amdhsa_user_sgpr_flat_scratch_init 0
		.amdhsa_user_sgpr_kernarg_preload_length 0
		.amdhsa_user_sgpr_kernarg_preload_offset 0
		.amdhsa_user_sgpr_private_segment_size 0
		.amdhsa_uses_dynamic_stack 0
		.amdhsa_system_sgpr_private_segment_wavefront_offset 0
		.amdhsa_system_sgpr_workgroup_id_x 1
		.amdhsa_system_sgpr_workgroup_id_y 0
		.amdhsa_system_sgpr_workgroup_id_z 0
		.amdhsa_system_sgpr_workgroup_info 0
		.amdhsa_system_vgpr_workitem_id 0
		.amdhsa_next_free_vgpr 4
		.amdhsa_next_free_sgpr 8
		.amdhsa_accum_offset 4
		.amdhsa_reserve_vcc 1
		.amdhsa_reserve_flat_scratch 0
		.amdhsa_float_round_mode_32 0
		.amdhsa_float_round_mode_16_64 0
		.amdhsa_float_denorm_mode_32 3
		.amdhsa_float_denorm_mode_16_64 3
		.amdhsa_dx10_clamp 1
		.amdhsa_ieee_mode 1
		.amdhsa_fp16_overflow 0
		.amdhsa_tg_split 0
		.amdhsa_exception_fp_ieee_invalid_op 0
		.amdhsa_exception_fp_denorm_src 0
		.amdhsa_exception_fp_ieee_div_zero 0
		.amdhsa_exception_fp_ieee_overflow 0
		.amdhsa_exception_fp_ieee_underflow 0
		.amdhsa_exception_fp_ieee_inexact 0
		.amdhsa_exception_int_div_zero 0
	.end_amdhsa_kernel
	.section	.text._Z6kernelI13subtract_leftLj256ELj1ELb0EJPiS1_jEEvDpT3_,"axG",@progbits,_Z6kernelI13subtract_leftLj256ELj1ELb0EJPiS1_jEEvDpT3_,comdat
.Lfunc_end0:
	.size	_Z6kernelI13subtract_leftLj256ELj1ELb0EJPiS1_jEEvDpT3_, .Lfunc_end0-_Z6kernelI13subtract_leftLj256ELj1ELb0EJPiS1_jEEvDpT3_
                                        ; -- End function
	.section	.AMDGPU.csdata,"",@progbits
; Kernel info:
; codeLenInByte = 172
; NumSgprs: 12
; NumVgprs: 4
; NumAgprs: 0
; TotalNumVgprs: 4
; ScratchSize: 0
; MemoryBound: 0
; FloatMode: 240
; IeeeMode: 1
; LDSByteSize: 2048 bytes/workgroup (compile time only)
; SGPRBlocks: 1
; VGPRBlocks: 0
; NumSGPRsForWavesPerEU: 12
; NumVGPRsForWavesPerEU: 4
; AccumOffset: 4
; Occupancy: 8
; WaveLimiterHint : 0
; COMPUTE_PGM_RSRC2:SCRATCH_EN: 0
; COMPUTE_PGM_RSRC2:USER_SGPR: 6
; COMPUTE_PGM_RSRC2:TRAP_HANDLER: 0
; COMPUTE_PGM_RSRC2:TGID_X_EN: 1
; COMPUTE_PGM_RSRC2:TGID_Y_EN: 0
; COMPUTE_PGM_RSRC2:TGID_Z_EN: 0
; COMPUTE_PGM_RSRC2:TIDIG_COMP_CNT: 0
; COMPUTE_PGM_RSRC3_GFX90A:ACCUM_OFFSET: 0
; COMPUTE_PGM_RSRC3_GFX90A:TG_SPLIT: 0
	.section	.text._Z6kernelI13subtract_leftLj256ELj3ELb0EJPiS1_jEEvDpT3_,"axG",@progbits,_Z6kernelI13subtract_leftLj256ELj3ELb0EJPiS1_jEEvDpT3_,comdat
	.protected	_Z6kernelI13subtract_leftLj256ELj3ELb0EJPiS1_jEEvDpT3_ ; -- Begin function _Z6kernelI13subtract_leftLj256ELj3ELb0EJPiS1_jEEvDpT3_
	.globl	_Z6kernelI13subtract_leftLj256ELj3ELb0EJPiS1_jEEvDpT3_
	.p2align	8
	.type	_Z6kernelI13subtract_leftLj256ELj3ELb0EJPiS1_jEEvDpT3_,@function
_Z6kernelI13subtract_leftLj256ELj3ELb0EJPiS1_jEEvDpT3_: ; @_Z6kernelI13subtract_leftLj256ELj3ELb0EJPiS1_jEEvDpT3_
; %bb.0:
	s_load_dwordx4 s[0:3], s[4:5], 0x0
	s_load_dword s7, s[4:5], 0x10
	s_mul_i32 s4, s6, 0x300
	s_mov_b32 s5, 0
	s_lshl_b64 s[4:5], s[4:5], 2
	s_waitcnt lgkmcnt(0)
	s_add_u32 s0, s0, s4
	s_addc_u32 s1, s1, s5
	v_lshlrev_b32_e32 v1, 2, v0
	global_load_dword v4, v1, s[0:1]
	global_load_dword v3, v1, s[0:1] offset:1024
	global_load_dword v2, v1, s[0:1] offset:2048
	s_cmp_eq_u32 s7, 0
	s_cbranch_scc1 .LBB1_5
; %bb.1:
	v_cmp_ne_u32_e32 vcc, 0, v0
	v_add_u32_e32 v0, -4, v1
	s_branch .LBB1_3
.LBB1_2:                                ;   in Loop: Header=BB1_3 Depth=1
	s_or_b64 exec, exec, s[0:1]
	v_sub_u32_e32 v6, v2, v3
	v_sub_u32_e32 v7, v3, v4
	s_add_i32 s7, s7, -1
	v_add_u32_e32 v4, v5, v4
	v_add_u32_e32 v3, v7, v3
	;; [unrolled: 1-line block ×3, first 2 shown]
	s_cmp_lg_u32 s7, 0
	s_barrier
	s_cbranch_scc0 .LBB1_5
.LBB1_3:                                ; =>This Inner Loop Header: Depth=1
	s_waitcnt vmcnt(2)
	v_mov_b32_e32 v5, v4
	s_waitcnt vmcnt(0)
	ds_write_b32 v1, v2
	s_waitcnt lgkmcnt(0)
	s_barrier
	s_and_saveexec_b64 s[0:1], vcc
	s_cbranch_execz .LBB1_2
; %bb.4:                                ;   in Loop: Header=BB1_3 Depth=1
	ds_read_b32 v5, v0
	s_waitcnt lgkmcnt(0)
	v_sub_u32_e32 v5, v4, v5
	s_branch .LBB1_2
.LBB1_5:
	s_add_u32 s0, s2, s4
	s_addc_u32 s1, s3, s5
	s_waitcnt vmcnt(2)
	global_store_dword v1, v4, s[0:1]
	s_waitcnt vmcnt(2)
	global_store_dword v1, v3, s[0:1] offset:1024
	s_waitcnt vmcnt(2)
	global_store_dword v1, v2, s[0:1] offset:2048
	s_endpgm
	.section	.rodata,"a",@progbits
	.p2align	6, 0x0
	.amdhsa_kernel _Z6kernelI13subtract_leftLj256ELj3ELb0EJPiS1_jEEvDpT3_
		.amdhsa_group_segment_fixed_size 2048
		.amdhsa_private_segment_fixed_size 0
		.amdhsa_kernarg_size 20
		.amdhsa_user_sgpr_count 6
		.amdhsa_user_sgpr_private_segment_buffer 1
		.amdhsa_user_sgpr_dispatch_ptr 0
		.amdhsa_user_sgpr_queue_ptr 0
		.amdhsa_user_sgpr_kernarg_segment_ptr 1
		.amdhsa_user_sgpr_dispatch_id 0
		.amdhsa_user_sgpr_flat_scratch_init 0
		.amdhsa_user_sgpr_kernarg_preload_length 0
		.amdhsa_user_sgpr_kernarg_preload_offset 0
		.amdhsa_user_sgpr_private_segment_size 0
		.amdhsa_uses_dynamic_stack 0
		.amdhsa_system_sgpr_private_segment_wavefront_offset 0
		.amdhsa_system_sgpr_workgroup_id_x 1
		.amdhsa_system_sgpr_workgroup_id_y 0
		.amdhsa_system_sgpr_workgroup_id_z 0
		.amdhsa_system_sgpr_workgroup_info 0
		.amdhsa_system_vgpr_workitem_id 0
		.amdhsa_next_free_vgpr 8
		.amdhsa_next_free_sgpr 8
		.amdhsa_accum_offset 8
		.amdhsa_reserve_vcc 1
		.amdhsa_reserve_flat_scratch 0
		.amdhsa_float_round_mode_32 0
		.amdhsa_float_round_mode_16_64 0
		.amdhsa_float_denorm_mode_32 3
		.amdhsa_float_denorm_mode_16_64 3
		.amdhsa_dx10_clamp 1
		.amdhsa_ieee_mode 1
		.amdhsa_fp16_overflow 0
		.amdhsa_tg_split 0
		.amdhsa_exception_fp_ieee_invalid_op 0
		.amdhsa_exception_fp_denorm_src 0
		.amdhsa_exception_fp_ieee_div_zero 0
		.amdhsa_exception_fp_ieee_overflow 0
		.amdhsa_exception_fp_ieee_underflow 0
		.amdhsa_exception_fp_ieee_inexact 0
		.amdhsa_exception_int_div_zero 0
	.end_amdhsa_kernel
	.section	.text._Z6kernelI13subtract_leftLj256ELj3ELb0EJPiS1_jEEvDpT3_,"axG",@progbits,_Z6kernelI13subtract_leftLj256ELj3ELb0EJPiS1_jEEvDpT3_,comdat
.Lfunc_end1:
	.size	_Z6kernelI13subtract_leftLj256ELj3ELb0EJPiS1_jEEvDpT3_, .Lfunc_end1-_Z6kernelI13subtract_leftLj256ELj3ELb0EJPiS1_jEEvDpT3_
                                        ; -- End function
	.section	.AMDGPU.csdata,"",@progbits
; Kernel info:
; codeLenInByte = 236
; NumSgprs: 12
; NumVgprs: 8
; NumAgprs: 0
; TotalNumVgprs: 8
; ScratchSize: 0
; MemoryBound: 0
; FloatMode: 240
; IeeeMode: 1
; LDSByteSize: 2048 bytes/workgroup (compile time only)
; SGPRBlocks: 1
; VGPRBlocks: 0
; NumSGPRsForWavesPerEU: 12
; NumVGPRsForWavesPerEU: 8
; AccumOffset: 8
; Occupancy: 8
; WaveLimiterHint : 1
; COMPUTE_PGM_RSRC2:SCRATCH_EN: 0
; COMPUTE_PGM_RSRC2:USER_SGPR: 6
; COMPUTE_PGM_RSRC2:TRAP_HANDLER: 0
; COMPUTE_PGM_RSRC2:TGID_X_EN: 1
; COMPUTE_PGM_RSRC2:TGID_Y_EN: 0
; COMPUTE_PGM_RSRC2:TGID_Z_EN: 0
; COMPUTE_PGM_RSRC2:TIDIG_COMP_CNT: 0
; COMPUTE_PGM_RSRC3_GFX90A:ACCUM_OFFSET: 1
; COMPUTE_PGM_RSRC3_GFX90A:TG_SPLIT: 0
	.section	.text._Z6kernelI13subtract_leftLj256ELj4ELb0EJPiS1_jEEvDpT3_,"axG",@progbits,_Z6kernelI13subtract_leftLj256ELj4ELb0EJPiS1_jEEvDpT3_,comdat
	.protected	_Z6kernelI13subtract_leftLj256ELj4ELb0EJPiS1_jEEvDpT3_ ; -- Begin function _Z6kernelI13subtract_leftLj256ELj4ELb0EJPiS1_jEEvDpT3_
	.globl	_Z6kernelI13subtract_leftLj256ELj4ELb0EJPiS1_jEEvDpT3_
	.p2align	8
	.type	_Z6kernelI13subtract_leftLj256ELj4ELb0EJPiS1_jEEvDpT3_,@function
_Z6kernelI13subtract_leftLj256ELj4ELb0EJPiS1_jEEvDpT3_: ; @_Z6kernelI13subtract_leftLj256ELj4ELb0EJPiS1_jEEvDpT3_
; %bb.0:
	s_load_dwordx4 s[0:3], s[4:5], 0x0
	s_load_dword s7, s[4:5], 0x10
	s_lshl_b32 s4, s6, 10
	s_mov_b32 s5, 0
	s_lshl_b64 s[4:5], s[4:5], 2
	s_waitcnt lgkmcnt(0)
	s_add_u32 s0, s0, s4
	s_addc_u32 s1, s1, s5
	v_lshlrev_b32_e32 v1, 2, v0
	global_load_dword v5, v1, s[0:1]
	global_load_dword v4, v1, s[0:1] offset:1024
	global_load_dword v3, v1, s[0:1] offset:2048
	;; [unrolled: 1-line block ×3, first 2 shown]
	s_cmp_eq_u32 s7, 0
	s_cbranch_scc1 .LBB2_5
; %bb.1:
	v_cmp_ne_u32_e32 vcc, 0, v0
	v_add_u32_e32 v0, -4, v1
	s_branch .LBB2_3
.LBB2_2:                                ;   in Loop: Header=BB2_3 Depth=1
	s_or_b64 exec, exec, s[0:1]
	v_sub_u32_e32 v7, v2, v3
	v_sub_u32_e32 v8, v3, v4
	;; [unrolled: 1-line block ×3, first 2 shown]
	s_add_i32 s7, s7, -1
	v_add_u32_e32 v5, v6, v5
	v_add_u32_e32 v4, v9, v4
	;; [unrolled: 1-line block ×4, first 2 shown]
	s_cmp_lg_u32 s7, 0
	s_barrier
	s_cbranch_scc0 .LBB2_5
.LBB2_3:                                ; =>This Inner Loop Header: Depth=1
	s_waitcnt vmcnt(3)
	v_mov_b32_e32 v6, v5
	s_waitcnt vmcnt(0)
	ds_write_b32 v1, v2
	s_waitcnt lgkmcnt(0)
	s_barrier
	s_and_saveexec_b64 s[0:1], vcc
	s_cbranch_execz .LBB2_2
; %bb.4:                                ;   in Loop: Header=BB2_3 Depth=1
	ds_read_b32 v6, v0
	s_waitcnt lgkmcnt(0)
	v_sub_u32_e32 v6, v5, v6
	s_branch .LBB2_2
.LBB2_5:
	s_add_u32 s0, s2, s4
	s_addc_u32 s1, s3, s5
	s_waitcnt vmcnt(3)
	global_store_dword v1, v5, s[0:1]
	s_waitcnt vmcnt(3)
	global_store_dword v1, v4, s[0:1] offset:1024
	s_waitcnt vmcnt(3)
	global_store_dword v1, v3, s[0:1] offset:2048
	s_waitcnt vmcnt(3)
	global_store_dword v1, v2, s[0:1] offset:3072
	s_endpgm
	.section	.rodata,"a",@progbits
	.p2align	6, 0x0
	.amdhsa_kernel _Z6kernelI13subtract_leftLj256ELj4ELb0EJPiS1_jEEvDpT3_
		.amdhsa_group_segment_fixed_size 2048
		.amdhsa_private_segment_fixed_size 0
		.amdhsa_kernarg_size 20
		.amdhsa_user_sgpr_count 6
		.amdhsa_user_sgpr_private_segment_buffer 1
		.amdhsa_user_sgpr_dispatch_ptr 0
		.amdhsa_user_sgpr_queue_ptr 0
		.amdhsa_user_sgpr_kernarg_segment_ptr 1
		.amdhsa_user_sgpr_dispatch_id 0
		.amdhsa_user_sgpr_flat_scratch_init 0
		.amdhsa_user_sgpr_kernarg_preload_length 0
		.amdhsa_user_sgpr_kernarg_preload_offset 0
		.amdhsa_user_sgpr_private_segment_size 0
		.amdhsa_uses_dynamic_stack 0
		.amdhsa_system_sgpr_private_segment_wavefront_offset 0
		.amdhsa_system_sgpr_workgroup_id_x 1
		.amdhsa_system_sgpr_workgroup_id_y 0
		.amdhsa_system_sgpr_workgroup_id_z 0
		.amdhsa_system_sgpr_workgroup_info 0
		.amdhsa_system_vgpr_workitem_id 0
		.amdhsa_next_free_vgpr 10
		.amdhsa_next_free_sgpr 8
		.amdhsa_accum_offset 12
		.amdhsa_reserve_vcc 1
		.amdhsa_reserve_flat_scratch 0
		.amdhsa_float_round_mode_32 0
		.amdhsa_float_round_mode_16_64 0
		.amdhsa_float_denorm_mode_32 3
		.amdhsa_float_denorm_mode_16_64 3
		.amdhsa_dx10_clamp 1
		.amdhsa_ieee_mode 1
		.amdhsa_fp16_overflow 0
		.amdhsa_tg_split 0
		.amdhsa_exception_fp_ieee_invalid_op 0
		.amdhsa_exception_fp_denorm_src 0
		.amdhsa_exception_fp_ieee_div_zero 0
		.amdhsa_exception_fp_ieee_overflow 0
		.amdhsa_exception_fp_ieee_underflow 0
		.amdhsa_exception_fp_ieee_inexact 0
		.amdhsa_exception_int_div_zero 0
	.end_amdhsa_kernel
	.section	.text._Z6kernelI13subtract_leftLj256ELj4ELb0EJPiS1_jEEvDpT3_,"axG",@progbits,_Z6kernelI13subtract_leftLj256ELj4ELb0EJPiS1_jEEvDpT3_,comdat
.Lfunc_end2:
	.size	_Z6kernelI13subtract_leftLj256ELj4ELb0EJPiS1_jEEvDpT3_, .Lfunc_end2-_Z6kernelI13subtract_leftLj256ELj4ELb0EJPiS1_jEEvDpT3_
                                        ; -- End function
	.section	.AMDGPU.csdata,"",@progbits
; Kernel info:
; codeLenInByte = 260
; NumSgprs: 12
; NumVgprs: 10
; NumAgprs: 0
; TotalNumVgprs: 10
; ScratchSize: 0
; MemoryBound: 0
; FloatMode: 240
; IeeeMode: 1
; LDSByteSize: 2048 bytes/workgroup (compile time only)
; SGPRBlocks: 1
; VGPRBlocks: 1
; NumSGPRsForWavesPerEU: 12
; NumVGPRsForWavesPerEU: 10
; AccumOffset: 12
; Occupancy: 8
; WaveLimiterHint : 1
; COMPUTE_PGM_RSRC2:SCRATCH_EN: 0
; COMPUTE_PGM_RSRC2:USER_SGPR: 6
; COMPUTE_PGM_RSRC2:TRAP_HANDLER: 0
; COMPUTE_PGM_RSRC2:TGID_X_EN: 1
; COMPUTE_PGM_RSRC2:TGID_Y_EN: 0
; COMPUTE_PGM_RSRC2:TGID_Z_EN: 0
; COMPUTE_PGM_RSRC2:TIDIG_COMP_CNT: 0
; COMPUTE_PGM_RSRC3_GFX90A:ACCUM_OFFSET: 2
; COMPUTE_PGM_RSRC3_GFX90A:TG_SPLIT: 0
	.section	.text._Z6kernelI13subtract_leftLj256ELj8ELb0EJPiS1_jEEvDpT3_,"axG",@progbits,_Z6kernelI13subtract_leftLj256ELj8ELb0EJPiS1_jEEvDpT3_,comdat
	.protected	_Z6kernelI13subtract_leftLj256ELj8ELb0EJPiS1_jEEvDpT3_ ; -- Begin function _Z6kernelI13subtract_leftLj256ELj8ELb0EJPiS1_jEEvDpT3_
	.globl	_Z6kernelI13subtract_leftLj256ELj8ELb0EJPiS1_jEEvDpT3_
	.p2align	8
	.type	_Z6kernelI13subtract_leftLj256ELj8ELb0EJPiS1_jEEvDpT3_,@function
_Z6kernelI13subtract_leftLj256ELj8ELb0EJPiS1_jEEvDpT3_: ; @_Z6kernelI13subtract_leftLj256ELj8ELb0EJPiS1_jEEvDpT3_
; %bb.0:
	s_load_dwordx4 s[0:3], s[4:5], 0x0
	s_load_dword s7, s[4:5], 0x10
	s_lshl_b32 s4, s6, 11
	s_mov_b32 s5, 0
	s_lshl_b64 s[4:5], s[4:5], 2
	s_waitcnt lgkmcnt(0)
	s_add_u32 s0, s0, s4
	s_addc_u32 s1, s1, s5
	v_lshlrev_b32_e32 v1, 2, v0
	v_mov_b32_e32 v2, s1
	v_add_co_u32_e32 v3, vcc, s0, v1
	v_addc_co_u32_e32 v2, vcc, 0, v2, vcc
	v_add_co_u32_e32 v12, vcc, 0x1000, v3
	v_addc_co_u32_e32 v13, vcc, 0, v2, vcc
	global_load_dword v3, v1, s[0:1]
	global_load_dword v4, v1, s[0:1] offset:1024
	global_load_dword v5, v1, s[0:1] offset:2048
	;; [unrolled: 1-line block ×3, first 2 shown]
	global_load_dword v7, v[12:13], off
	global_load_dword v8, v[12:13], off offset:1024
	global_load_dword v10, v[12:13], off offset:2048
	global_load_dword v2, v[12:13], off offset:3072
	s_cmp_eq_u32 s7, 0
	s_cbranch_scc1 .LBB3_6
; %bb.1:
	v_cmp_ne_u32_e32 vcc, 0, v0
	v_add_u32_e32 v0, -4, v1
.LBB3_2:                                ; =>This Inner Loop Header: Depth=1
	s_waitcnt vmcnt(7)
	v_mov_b32_e32 v9, v3
	s_waitcnt vmcnt(0)
	ds_write_b32 v1, v2
	s_waitcnt lgkmcnt(0)
	s_barrier
	s_and_saveexec_b64 s[0:1], vcc
	s_cbranch_execz .LBB3_4
; %bb.3:                                ;   in Loop: Header=BB3_2 Depth=1
	ds_read_b32 v9, v0
	s_waitcnt lgkmcnt(0)
	v_sub_u32_e32 v9, v3, v9
.LBB3_4:                                ;   in Loop: Header=BB3_2 Depth=1
	s_or_b64 exec, exec, s[0:1]
	v_add_u32_e32 v16, v9, v3
	v_lshlrev_b32_e32 v9, 1, v4
	v_sub_u32_e32 v15, v9, v3
	v_lshlrev_b32_e32 v3, 1, v5
	v_sub_u32_e32 v14, v3, v4
	;; [unrolled: 2-line block ×5, first 2 shown]
	v_lshlrev_b32_e32 v3, 1, v10
	v_lshlrev_b32_e32 v2, 1, v2
	s_add_i32 s7, s7, -1
	v_sub_u32_e32 v9, v3, v8
	v_sub_u32_e32 v2, v2, v10
	s_cmp_lg_u32 s7, 0
	s_barrier
	s_cbranch_scc0 .LBB3_7
; %bb.5:                                ;   in Loop: Header=BB3_2 Depth=1
	v_mov_b32_e32 v3, v16
	v_mov_b32_e32 v4, v15
	;; [unrolled: 1-line block ×7, first 2 shown]
	s_branch .LBB3_2
.LBB3_6:
	s_waitcnt vmcnt(1)
	v_mov_b32_e32 v9, v10
	v_mov_b32_e32 v11, v8
	;; [unrolled: 1-line block ×7, first 2 shown]
.LBB3_7:
	s_add_u32 s0, s2, s4
	s_addc_u32 s1, s3, s5
	v_mov_b32_e32 v0, s1
	v_add_co_u32_e32 v3, vcc, s0, v1
	v_addc_co_u32_e32 v4, vcc, 0, v0, vcc
	v_add_co_u32_e32 v0, vcc, 0x1000, v3
	global_store_dword v1, v16, s[0:1]
	global_store_dword v1, v15, s[0:1] offset:1024
	global_store_dword v1, v14, s[0:1] offset:2048
	;; [unrolled: 1-line block ×3, first 2 shown]
	v_addc_co_u32_e32 v1, vcc, 0, v4, vcc
	global_store_dword v[0:1], v12, off
	global_store_dword v[0:1], v11, off offset:1024
	global_store_dword v[0:1], v9, off offset:2048
	s_waitcnt vmcnt(7)
	global_store_dword v[0:1], v2, off offset:3072
	s_endpgm
	.section	.rodata,"a",@progbits
	.p2align	6, 0x0
	.amdhsa_kernel _Z6kernelI13subtract_leftLj256ELj8ELb0EJPiS1_jEEvDpT3_
		.amdhsa_group_segment_fixed_size 2048
		.amdhsa_private_segment_fixed_size 0
		.amdhsa_kernarg_size 20
		.amdhsa_user_sgpr_count 6
		.amdhsa_user_sgpr_private_segment_buffer 1
		.amdhsa_user_sgpr_dispatch_ptr 0
		.amdhsa_user_sgpr_queue_ptr 0
		.amdhsa_user_sgpr_kernarg_segment_ptr 1
		.amdhsa_user_sgpr_dispatch_id 0
		.amdhsa_user_sgpr_flat_scratch_init 0
		.amdhsa_user_sgpr_kernarg_preload_length 0
		.amdhsa_user_sgpr_kernarg_preload_offset 0
		.amdhsa_user_sgpr_private_segment_size 0
		.amdhsa_uses_dynamic_stack 0
		.amdhsa_system_sgpr_private_segment_wavefront_offset 0
		.amdhsa_system_sgpr_workgroup_id_x 1
		.amdhsa_system_sgpr_workgroup_id_y 0
		.amdhsa_system_sgpr_workgroup_id_z 0
		.amdhsa_system_sgpr_workgroup_info 0
		.amdhsa_system_vgpr_workitem_id 0
		.amdhsa_next_free_vgpr 17
		.amdhsa_next_free_sgpr 8
		.amdhsa_accum_offset 20
		.amdhsa_reserve_vcc 1
		.amdhsa_reserve_flat_scratch 0
		.amdhsa_float_round_mode_32 0
		.amdhsa_float_round_mode_16_64 0
		.amdhsa_float_denorm_mode_32 3
		.amdhsa_float_denorm_mode_16_64 3
		.amdhsa_dx10_clamp 1
		.amdhsa_ieee_mode 1
		.amdhsa_fp16_overflow 0
		.amdhsa_tg_split 0
		.amdhsa_exception_fp_ieee_invalid_op 0
		.amdhsa_exception_fp_denorm_src 0
		.amdhsa_exception_fp_ieee_div_zero 0
		.amdhsa_exception_fp_ieee_overflow 0
		.amdhsa_exception_fp_ieee_underflow 0
		.amdhsa_exception_fp_ieee_inexact 0
		.amdhsa_exception_int_div_zero 0
	.end_amdhsa_kernel
	.section	.text._Z6kernelI13subtract_leftLj256ELj8ELb0EJPiS1_jEEvDpT3_,"axG",@progbits,_Z6kernelI13subtract_leftLj256ELj8ELb0EJPiS1_jEEvDpT3_,comdat
.Lfunc_end3:
	.size	_Z6kernelI13subtract_leftLj256ELj8ELb0EJPiS1_jEEvDpT3_, .Lfunc_end3-_Z6kernelI13subtract_leftLj256ELj8ELb0EJPiS1_jEEvDpT3_
                                        ; -- End function
	.section	.AMDGPU.csdata,"",@progbits
; Kernel info:
; codeLenInByte = 448
; NumSgprs: 12
; NumVgprs: 17
; NumAgprs: 0
; TotalNumVgprs: 17
; ScratchSize: 0
; MemoryBound: 0
; FloatMode: 240
; IeeeMode: 1
; LDSByteSize: 2048 bytes/workgroup (compile time only)
; SGPRBlocks: 1
; VGPRBlocks: 2
; NumSGPRsForWavesPerEU: 12
; NumVGPRsForWavesPerEU: 17
; AccumOffset: 20
; Occupancy: 8
; WaveLimiterHint : 1
; COMPUTE_PGM_RSRC2:SCRATCH_EN: 0
; COMPUTE_PGM_RSRC2:USER_SGPR: 6
; COMPUTE_PGM_RSRC2:TRAP_HANDLER: 0
; COMPUTE_PGM_RSRC2:TGID_X_EN: 1
; COMPUTE_PGM_RSRC2:TGID_Y_EN: 0
; COMPUTE_PGM_RSRC2:TGID_Z_EN: 0
; COMPUTE_PGM_RSRC2:TIDIG_COMP_CNT: 0
; COMPUTE_PGM_RSRC3_GFX90A:ACCUM_OFFSET: 4
; COMPUTE_PGM_RSRC3_GFX90A:TG_SPLIT: 0
	.section	.text._Z6kernelI13subtract_leftLj256ELj16ELb0EJPiS1_jEEvDpT3_,"axG",@progbits,_Z6kernelI13subtract_leftLj256ELj16ELb0EJPiS1_jEEvDpT3_,comdat
	.protected	_Z6kernelI13subtract_leftLj256ELj16ELb0EJPiS1_jEEvDpT3_ ; -- Begin function _Z6kernelI13subtract_leftLj256ELj16ELb0EJPiS1_jEEvDpT3_
	.globl	_Z6kernelI13subtract_leftLj256ELj16ELb0EJPiS1_jEEvDpT3_
	.p2align	8
	.type	_Z6kernelI13subtract_leftLj256ELj16ELb0EJPiS1_jEEvDpT3_,@function
_Z6kernelI13subtract_leftLj256ELj16ELb0EJPiS1_jEEvDpT3_: ; @_Z6kernelI13subtract_leftLj256ELj16ELb0EJPiS1_jEEvDpT3_
; %bb.0:
	s_load_dwordx4 s[0:3], s[4:5], 0x0
	s_load_dword s7, s[4:5], 0x10
	s_lshl_b32 s4, s6, 12
	s_mov_b32 s5, 0
	s_lshl_b64 s[4:5], s[4:5], 2
	s_waitcnt lgkmcnt(0)
	s_add_u32 s0, s0, s4
	s_addc_u32 s1, s1, s5
	v_lshlrev_b32_e32 v1, 2, v0
	v_mov_b32_e32 v2, s1
	v_add_co_u32_e32 v6, vcc, s0, v1
	v_addc_co_u32_e32 v7, vcc, 0, v2, vcc
	s_movk_i32 s6, 0x1000
	v_add_co_u32_e32 v18, vcc, s6, v6
	v_addc_co_u32_e32 v19, vcc, 0, v7, vcc
	s_movk_i32 s6, 0x2000
	v_add_co_u32_e32 v20, vcc, s6, v6
	v_addc_co_u32_e32 v21, vcc, 0, v7, vcc
	v_add_co_u32_e32 v22, vcc, 0x3000, v6
	global_load_dword v5, v[20:21], off
	global_load_dword v4, v[20:21], off offset:1024
	global_load_dword v3, v[20:21], off offset:2048
	;; [unrolled: 1-line block ×3, first 2 shown]
	v_addc_co_u32_e32 v23, vcc, 0, v7, vcc
	global_load_dword v16, v1, s[0:1]
	global_load_dword v15, v1, s[0:1] offset:1024
	global_load_dword v14, v1, s[0:1] offset:2048
	;; [unrolled: 1-line block ×3, first 2 shown]
	global_load_dword v12, v[18:19], off offset:1024
	global_load_dword v11, v[18:19], off offset:2048
	global_load_dword v10, v[18:19], off offset:3072
	global_load_dword v8, v[22:23], off
	global_load_dword v7, v[22:23], off offset:1024
	global_load_dword v6, v[22:23], off offset:2048
	global_load_dword v17, v[20:21], off offset:-4096
	global_load_dword v9, v[22:23], off offset:3072
	s_cmp_eq_u32 s7, 0
	s_cbranch_scc1 .LBB4_5
; %bb.1:
	v_cmp_ne_u32_e32 vcc, 0, v0
	v_add_u32_e32 v0, -4, v1
	s_branch .LBB4_3
.LBB4_2:                                ;   in Loop: Header=BB4_3 Depth=1
	s_or_b64 exec, exec, s[0:1]
	v_sub_u32_e32 v19, v9, v6
	v_sub_u32_e32 v20, v6, v7
	;; [unrolled: 1-line block ×15, first 2 shown]
	s_add_i32 s7, s7, -1
	v_add_u32_e32 v16, v18, v16
	v_add_u32_e32 v15, v33, v15
	;; [unrolled: 1-line block ×16, first 2 shown]
	s_cmp_lg_u32 s7, 0
	s_barrier
	s_cbranch_scc0 .LBB4_5
.LBB4_3:                                ; =>This Inner Loop Header: Depth=1
	s_waitcnt vmcnt(11)
	v_mov_b32_e32 v18, v16
	s_waitcnt vmcnt(0)
	ds_write_b32 v1, v9
	s_waitcnt lgkmcnt(0)
	s_barrier
	s_and_saveexec_b64 s[0:1], vcc
	s_cbranch_execz .LBB4_2
; %bb.4:                                ;   in Loop: Header=BB4_3 Depth=1
	ds_read_b32 v18, v0
	s_waitcnt lgkmcnt(0)
	v_sub_u32_e32 v18, v16, v18
	s_branch .LBB4_2
.LBB4_5:
	s_add_u32 s0, s2, s4
	s_addc_u32 s1, s3, s5
	v_mov_b32_e32 v0, s1
	v_add_co_u32_e32 v18, vcc, s0, v1
	v_addc_co_u32_e32 v19, vcc, 0, v0, vcc
	v_add_co_u32_e32 v0, vcc, 0x1000, v18
	s_waitcnt vmcnt(11)
	global_store_dword v1, v16, s[0:1]
	s_waitcnt vmcnt(11)
	global_store_dword v1, v15, s[0:1] offset:1024
	s_waitcnt vmcnt(11)
	global_store_dword v1, v14, s[0:1] offset:2048
	;; [unrolled: 2-line block ×3, first 2 shown]
	v_addc_co_u32_e32 v1, vcc, 0, v19, vcc
	s_waitcnt vmcnt(5)
	global_store_dword v[0:1], v17, off
	global_store_dword v[0:1], v12, off offset:1024
	global_store_dword v[0:1], v11, off offset:2048
	;; [unrolled: 1-line block ×3, first 2 shown]
	v_add_co_u32_e32 v0, vcc, 0x2000, v18
	v_addc_co_u32_e32 v1, vcc, 0, v19, vcc
	global_store_dword v[0:1], v5, off
	global_store_dword v[0:1], v4, off offset:1024
	global_store_dword v[0:1], v3, off offset:2048
	;; [unrolled: 1-line block ×3, first 2 shown]
	v_add_co_u32_e32 v0, vcc, 0x3000, v18
	v_addc_co_u32_e32 v1, vcc, 0, v19, vcc
	global_store_dword v[0:1], v8, off
	global_store_dword v[0:1], v7, off offset:1024
	global_store_dword v[0:1], v6, off offset:2048
	s_waitcnt vmcnt(15)
	global_store_dword v[0:1], v9, off offset:3072
	s_endpgm
	.section	.rodata,"a",@progbits
	.p2align	6, 0x0
	.amdhsa_kernel _Z6kernelI13subtract_leftLj256ELj16ELb0EJPiS1_jEEvDpT3_
		.amdhsa_group_segment_fixed_size 2048
		.amdhsa_private_segment_fixed_size 0
		.amdhsa_kernarg_size 20
		.amdhsa_user_sgpr_count 6
		.amdhsa_user_sgpr_private_segment_buffer 1
		.amdhsa_user_sgpr_dispatch_ptr 0
		.amdhsa_user_sgpr_queue_ptr 0
		.amdhsa_user_sgpr_kernarg_segment_ptr 1
		.amdhsa_user_sgpr_dispatch_id 0
		.amdhsa_user_sgpr_flat_scratch_init 0
		.amdhsa_user_sgpr_kernarg_preload_length 0
		.amdhsa_user_sgpr_kernarg_preload_offset 0
		.amdhsa_user_sgpr_private_segment_size 0
		.amdhsa_uses_dynamic_stack 0
		.amdhsa_system_sgpr_private_segment_wavefront_offset 0
		.amdhsa_system_sgpr_workgroup_id_x 1
		.amdhsa_system_sgpr_workgroup_id_y 0
		.amdhsa_system_sgpr_workgroup_id_z 0
		.amdhsa_system_sgpr_workgroup_info 0
		.amdhsa_system_vgpr_workitem_id 0
		.amdhsa_next_free_vgpr 34
		.amdhsa_next_free_sgpr 8
		.amdhsa_accum_offset 36
		.amdhsa_reserve_vcc 1
		.amdhsa_reserve_flat_scratch 0
		.amdhsa_float_round_mode_32 0
		.amdhsa_float_round_mode_16_64 0
		.amdhsa_float_denorm_mode_32 3
		.amdhsa_float_denorm_mode_16_64 3
		.amdhsa_dx10_clamp 1
		.amdhsa_ieee_mode 1
		.amdhsa_fp16_overflow 0
		.amdhsa_tg_split 0
		.amdhsa_exception_fp_ieee_invalid_op 0
		.amdhsa_exception_fp_denorm_src 0
		.amdhsa_exception_fp_ieee_div_zero 0
		.amdhsa_exception_fp_ieee_overflow 0
		.amdhsa_exception_fp_ieee_underflow 0
		.amdhsa_exception_fp_ieee_inexact 0
		.amdhsa_exception_int_div_zero 0
	.end_amdhsa_kernel
	.section	.text._Z6kernelI13subtract_leftLj256ELj16ELb0EJPiS1_jEEvDpT3_,"axG",@progbits,_Z6kernelI13subtract_leftLj256ELj16ELb0EJPiS1_jEEvDpT3_,comdat
.Lfunc_end4:
	.size	_Z6kernelI13subtract_leftLj256ELj16ELb0EJPiS1_jEEvDpT3_, .Lfunc_end4-_Z6kernelI13subtract_leftLj256ELj16ELb0EJPiS1_jEEvDpT3_
                                        ; -- End function
	.section	.AMDGPU.csdata,"",@progbits
; Kernel info:
; codeLenInByte = 652
; NumSgprs: 12
; NumVgprs: 34
; NumAgprs: 0
; TotalNumVgprs: 34
; ScratchSize: 0
; MemoryBound: 0
; FloatMode: 240
; IeeeMode: 1
; LDSByteSize: 2048 bytes/workgroup (compile time only)
; SGPRBlocks: 1
; VGPRBlocks: 4
; NumSGPRsForWavesPerEU: 12
; NumVGPRsForWavesPerEU: 34
; AccumOffset: 36
; Occupancy: 8
; WaveLimiterHint : 1
; COMPUTE_PGM_RSRC2:SCRATCH_EN: 0
; COMPUTE_PGM_RSRC2:USER_SGPR: 6
; COMPUTE_PGM_RSRC2:TRAP_HANDLER: 0
; COMPUTE_PGM_RSRC2:TGID_X_EN: 1
; COMPUTE_PGM_RSRC2:TGID_Y_EN: 0
; COMPUTE_PGM_RSRC2:TGID_Z_EN: 0
; COMPUTE_PGM_RSRC2:TIDIG_COMP_CNT: 0
; COMPUTE_PGM_RSRC3_GFX90A:ACCUM_OFFSET: 8
; COMPUTE_PGM_RSRC3_GFX90A:TG_SPLIT: 0
	.section	.text._Z6kernelI13subtract_leftLj256ELj32ELb0EJPiS1_jEEvDpT3_,"axG",@progbits,_Z6kernelI13subtract_leftLj256ELj32ELb0EJPiS1_jEEvDpT3_,comdat
	.protected	_Z6kernelI13subtract_leftLj256ELj32ELb0EJPiS1_jEEvDpT3_ ; -- Begin function _Z6kernelI13subtract_leftLj256ELj32ELb0EJPiS1_jEEvDpT3_
	.globl	_Z6kernelI13subtract_leftLj256ELj32ELb0EJPiS1_jEEvDpT3_
	.p2align	8
	.type	_Z6kernelI13subtract_leftLj256ELj32ELb0EJPiS1_jEEvDpT3_,@function
_Z6kernelI13subtract_leftLj256ELj32ELb0EJPiS1_jEEvDpT3_: ; @_Z6kernelI13subtract_leftLj256ELj32ELb0EJPiS1_jEEvDpT3_
; %bb.0:
	s_load_dwordx4 s[0:3], s[4:5], 0x0
	s_load_dword s7, s[4:5], 0x10
	s_lshl_b32 s4, s6, 13
	s_mov_b32 s5, 0
	s_lshl_b64 s[4:5], s[4:5], 2
	s_waitcnt lgkmcnt(0)
	s_add_u32 s0, s0, s4
	s_addc_u32 s1, s1, s5
	v_lshlrev_b32_e32 v1, 2, v0
	v_mov_b32_e32 v2, s1
	v_add_co_u32_e32 v17, vcc, s0, v1
	v_addc_co_u32_e32 v20, vcc, 0, v2, vcc
	s_movk_i32 s6, 0x1000
	v_add_co_u32_e32 v4, vcc, s6, v17
	v_addc_co_u32_e32 v5, vcc, 0, v20, vcc
	s_movk_i32 s6, 0x2000
	;; [unrolled: 3-line block ×4, first 2 shown]
	v_add_co_u32_e32 v18, vcc, s6, v17
	v_addc_co_u32_e32 v19, vcc, 0, v20, vcc
	global_load_dword v27, v1, s[0:1]
	global_load_dword v26, v1, s[0:1] offset:1024
	global_load_dword v25, v1, s[0:1] offset:2048
	;; [unrolled: 1-line block ×3, first 2 shown]
	global_load_dword v16, v[4:5], off offset:1024
	global_load_dword v15, v[4:5], off offset:2048
	;; [unrolled: 1-line block ×4, first 2 shown]
	global_load_dword v13, v[34:35], off
	global_load_dword v12, v[34:35], off offset:1024
	global_load_dword v11, v[34:35], off offset:2048
	;; [unrolled: 1-line block ×3, first 2 shown]
	global_load_dword v8, v[18:19], off offset:-4096
	global_load_dword v2, v[18:19], off
	s_movk_i32 s0, 0x5000
	v_add_co_u32_e32 v38, vcc, s0, v17
	v_addc_co_u32_e32 v39, vcc, 0, v20, vcc
	s_movk_i32 s0, 0x6000
	v_add_co_u32_e32 v28, vcc, s0, v17
	v_addc_co_u32_e32 v29, vcc, 0, v20, vcc
	v_add_co_u32_e32 v40, vcc, 0x7000, v17
	global_load_dword v23, v[18:19], off offset:1024
	global_load_dword v22, v[18:19], off offset:2048
	;; [unrolled: 1-line block ×3, first 2 shown]
	global_load_dword v9, v[28:29], off offset:-4096
	global_load_dword v7, v[28:29], off
	global_load_dword v6, v[28:29], off offset:1024
	global_load_dword v5, v[28:29], off offset:2048
	;; [unrolled: 1-line block ×3, first 2 shown]
	v_addc_co_u32_e32 v41, vcc, 0, v20, vcc
	global_load_dword v32, v[36:37], off offset:2048
	global_load_dword v31, v[36:37], off offset:3072
	;; [unrolled: 1-line block ×5, first 2 shown]
	global_load_dword v19, v[40:41], off
	global_load_dword v18, v[40:41], off offset:1024
	global_load_dword v17, v[40:41], off offset:2048
	global_load_dword v33, v[34:35], off offset:-4096
	global_load_dword v20, v[40:41], off offset:3072
	s_cmp_eq_u32 s7, 0
	s_cbranch_scc1 .LBB5_5
; %bb.1:
	v_cmp_ne_u32_e32 vcc, 0, v0
	v_add_u32_e32 v0, -4, v1
	s_branch .LBB5_3
.LBB5_2:                                ;   in Loop: Header=BB5_3 Depth=1
	s_or_b64 exec, exec, s[0:1]
	v_sub_u32_e32 v61, v26, v27
	v_add_u32_e32 v27, v34, v27
	v_sub_u32_e32 v34, v25, v26
	v_add_u32_e32 v26, v61, v26
	v_sub_u32_e32 v61, v24, v25
	v_sub_u32_e32 v35, v20, v17
	v_sub_u32_e32 v36, v17, v18
	v_sub_u32_e32 v37, v18, v19
	v_sub_u32_e32 v38, v19, v4
	v_sub_u32_e32 v39, v4, v5
	v_sub_u32_e32 v40, v5, v6
	v_sub_u32_e32 v41, v6, v7
	v_sub_u32_e32 v42, v7, v28
	v_sub_u32_e32 v43, v28, v29
	v_sub_u32_e32 v44, v29, v30
	v_sub_u32_e32 v45, v30, v9
	v_sub_u32_e32 v46, v9, v21
	v_sub_u32_e32 v47, v21, v22
	v_sub_u32_e32 v48, v22, v23
	v_sub_u32_e32 v49, v23, v2
	v_sub_u32_e32 v50, v2, v31
	v_sub_u32_e32 v51, v31, v32
	v_sub_u32_e32 v52, v32, v3
	v_sub_u32_e32 v53, v3, v8
	v_sub_u32_e32 v54, v8, v10
	v_sub_u32_e32 v55, v10, v11
	v_sub_u32_e32 v56, v11, v12
	v_sub_u32_e32 v57, v12, v13
	v_sub_u32_e32 v58, v13, v14
	v_sub_u32_e32 v59, v14, v15
	v_sub_u32_e32 v60, v15, v16
	v_add_u32_e32 v25, v34, v25
	v_sub_u32_e32 v34, v33, v24
	v_add_u32_e32 v24, v61, v24
	v_sub_u32_e32 v61, v16, v33
	s_add_i32 s7, s7, -1
	v_add_u32_e32 v33, v34, v33
	v_add_u32_e32 v16, v61, v16
	;; [unrolled: 1-line block ×28, first 2 shown]
	s_cmp_lg_u32 s7, 0
	s_barrier
	s_cbranch_scc0 .LBB5_5
.LBB5_3:                                ; =>This Inner Loop Header: Depth=1
	s_waitcnt vmcnt(31)
	v_mov_b32_e32 v34, v27
	s_waitcnt vmcnt(0)
	ds_write_b32 v1, v20
	s_waitcnt lgkmcnt(0)
	s_barrier
	s_and_saveexec_b64 s[0:1], vcc
	s_cbranch_execz .LBB5_2
; %bb.4:                                ;   in Loop: Header=BB5_3 Depth=1
	ds_read_b32 v34, v0
	s_waitcnt lgkmcnt(0)
	v_sub_u32_e32 v34, v27, v34
	s_branch .LBB5_2
.LBB5_5:
	s_add_u32 s0, s2, s4
	s_addc_u32 s1, s3, s5
	v_mov_b32_e32 v0, s1
	v_add_co_u32_e32 v34, vcc, s0, v1
	v_addc_co_u32_e32 v35, vcc, 0, v0, vcc
	v_add_co_u32_e32 v0, vcc, 0x1000, v34
	s_waitcnt vmcnt(31)
	global_store_dword v1, v27, s[0:1]
	s_waitcnt vmcnt(31)
	global_store_dword v1, v26, s[0:1] offset:1024
	s_waitcnt vmcnt(31)
	global_store_dword v1, v25, s[0:1] offset:2048
	;; [unrolled: 2-line block ×3, first 2 shown]
	v_addc_co_u32_e32 v1, vcc, 0, v35, vcc
	s_waitcnt vmcnt(5)
	global_store_dword v[0:1], v33, off
	global_store_dword v[0:1], v16, off offset:1024
	global_store_dword v[0:1], v15, off offset:2048
	global_store_dword v[0:1], v14, off offset:3072
	v_add_co_u32_e32 v0, vcc, 0x2000, v34
	v_addc_co_u32_e32 v1, vcc, 0, v35, vcc
	global_store_dword v[0:1], v13, off
	global_store_dword v[0:1], v12, off offset:1024
	global_store_dword v[0:1], v11, off offset:2048
	global_store_dword v[0:1], v10, off offset:3072
	v_add_co_u32_e32 v0, vcc, 0x3000, v34
	v_addc_co_u32_e32 v1, vcc, 0, v35, vcc
	;; [unrolled: 6-line block ×6, first 2 shown]
	global_store_dword v[0:1], v19, off
	global_store_dword v[0:1], v18, off offset:1024
	global_store_dword v[0:1], v17, off offset:2048
	s_waitcnt vmcnt(31)
	global_store_dword v[0:1], v20, off offset:3072
	s_endpgm
	.section	.rodata,"a",@progbits
	.p2align	6, 0x0
	.amdhsa_kernel _Z6kernelI13subtract_leftLj256ELj32ELb0EJPiS1_jEEvDpT3_
		.amdhsa_group_segment_fixed_size 2048
		.amdhsa_private_segment_fixed_size 0
		.amdhsa_kernarg_size 20
		.amdhsa_user_sgpr_count 6
		.amdhsa_user_sgpr_private_segment_buffer 1
		.amdhsa_user_sgpr_dispatch_ptr 0
		.amdhsa_user_sgpr_queue_ptr 0
		.amdhsa_user_sgpr_kernarg_segment_ptr 1
		.amdhsa_user_sgpr_dispatch_id 0
		.amdhsa_user_sgpr_flat_scratch_init 0
		.amdhsa_user_sgpr_kernarg_preload_length 0
		.amdhsa_user_sgpr_kernarg_preload_offset 0
		.amdhsa_user_sgpr_private_segment_size 0
		.amdhsa_uses_dynamic_stack 0
		.amdhsa_system_sgpr_private_segment_wavefront_offset 0
		.amdhsa_system_sgpr_workgroup_id_x 1
		.amdhsa_system_sgpr_workgroup_id_y 0
		.amdhsa_system_sgpr_workgroup_id_z 0
		.amdhsa_system_sgpr_workgroup_info 0
		.amdhsa_system_vgpr_workitem_id 0
		.amdhsa_next_free_vgpr 62
		.amdhsa_next_free_sgpr 8
		.amdhsa_accum_offset 64
		.amdhsa_reserve_vcc 1
		.amdhsa_reserve_flat_scratch 0
		.amdhsa_float_round_mode_32 0
		.amdhsa_float_round_mode_16_64 0
		.amdhsa_float_denorm_mode_32 3
		.amdhsa_float_denorm_mode_16_64 3
		.amdhsa_dx10_clamp 1
		.amdhsa_ieee_mode 1
		.amdhsa_fp16_overflow 0
		.amdhsa_tg_split 0
		.amdhsa_exception_fp_ieee_invalid_op 0
		.amdhsa_exception_fp_denorm_src 0
		.amdhsa_exception_fp_ieee_div_zero 0
		.amdhsa_exception_fp_ieee_overflow 0
		.amdhsa_exception_fp_ieee_underflow 0
		.amdhsa_exception_fp_ieee_inexact 0
		.amdhsa_exception_int_div_zero 0
	.end_amdhsa_kernel
	.section	.text._Z6kernelI13subtract_leftLj256ELj32ELb0EJPiS1_jEEvDpT3_,"axG",@progbits,_Z6kernelI13subtract_leftLj256ELj32ELb0EJPiS1_jEEvDpT3_,comdat
.Lfunc_end5:
	.size	_Z6kernelI13subtract_leftLj256ELj32ELb0EJPiS1_jEEvDpT3_, .Lfunc_end5-_Z6kernelI13subtract_leftLj256ELj32ELb0EJPiS1_jEEvDpT3_
                                        ; -- End function
	.section	.AMDGPU.csdata,"",@progbits
; Kernel info:
; codeLenInByte = 1132
; NumSgprs: 12
; NumVgprs: 62
; NumAgprs: 0
; TotalNumVgprs: 62
; ScratchSize: 0
; MemoryBound: 0
; FloatMode: 240
; IeeeMode: 1
; LDSByteSize: 2048 bytes/workgroup (compile time only)
; SGPRBlocks: 1
; VGPRBlocks: 7
; NumSGPRsForWavesPerEU: 12
; NumVGPRsForWavesPerEU: 62
; AccumOffset: 64
; Occupancy: 8
; WaveLimiterHint : 1
; COMPUTE_PGM_RSRC2:SCRATCH_EN: 0
; COMPUTE_PGM_RSRC2:USER_SGPR: 6
; COMPUTE_PGM_RSRC2:TRAP_HANDLER: 0
; COMPUTE_PGM_RSRC2:TGID_X_EN: 1
; COMPUTE_PGM_RSRC2:TGID_Y_EN: 0
; COMPUTE_PGM_RSRC2:TGID_Z_EN: 0
; COMPUTE_PGM_RSRC2:TIDIG_COMP_CNT: 0
; COMPUTE_PGM_RSRC3_GFX90A:ACCUM_OFFSET: 15
; COMPUTE_PGM_RSRC3_GFX90A:TG_SPLIT: 0
	.section	.text._Z6kernelI13subtract_leftLj256ELj1ELb0EJPfS1_jEEvDpT3_,"axG",@progbits,_Z6kernelI13subtract_leftLj256ELj1ELb0EJPfS1_jEEvDpT3_,comdat
	.protected	_Z6kernelI13subtract_leftLj256ELj1ELb0EJPfS1_jEEvDpT3_ ; -- Begin function _Z6kernelI13subtract_leftLj256ELj1ELb0EJPfS1_jEEvDpT3_
	.globl	_Z6kernelI13subtract_leftLj256ELj1ELb0EJPfS1_jEEvDpT3_
	.p2align	8
	.type	_Z6kernelI13subtract_leftLj256ELj1ELb0EJPfS1_jEEvDpT3_,@function
_Z6kernelI13subtract_leftLj256ELj1ELb0EJPfS1_jEEvDpT3_: ; @_Z6kernelI13subtract_leftLj256ELj1ELb0EJPfS1_jEEvDpT3_
; %bb.0:
	s_load_dwordx4 s[0:3], s[4:5], 0x0
	s_load_dword s7, s[4:5], 0x10
	s_lshl_b32 s4, s6, 8
	s_mov_b32 s5, 0
	s_lshl_b64 s[4:5], s[4:5], 2
	s_waitcnt lgkmcnt(0)
	s_add_u32 s0, s0, s4
	s_addc_u32 s1, s1, s5
	v_lshlrev_b32_e32 v1, 2, v0
	global_load_dword v2, v1, s[0:1]
	s_cmp_eq_u32 s7, 0
	s_cbranch_scc1 .LBB6_5
; %bb.1:
	v_cmp_ne_u32_e32 vcc, 0, v0
	v_add_u32_e32 v0, -4, v1
	s_branch .LBB6_3
.LBB6_2:                                ;   in Loop: Header=BB6_3 Depth=1
	s_or_b64 exec, exec, s[0:1]
	s_add_i32 s7, s7, -1
	v_add_f32_e32 v2, v2, v3
	s_cmp_lg_u32 s7, 0
	s_barrier
	s_cbranch_scc0 .LBB6_5
.LBB6_3:                                ; =>This Inner Loop Header: Depth=1
	s_waitcnt vmcnt(0)
	v_mov_b32_e32 v3, v2
	ds_write_b32 v1, v2
	s_waitcnt lgkmcnt(0)
	s_barrier
	s_and_saveexec_b64 s[0:1], vcc
	s_cbranch_execz .LBB6_2
; %bb.4:                                ;   in Loop: Header=BB6_3 Depth=1
	ds_read_b32 v3, v0
	s_waitcnt lgkmcnt(0)
	v_sub_f32_e32 v3, v2, v3
	s_branch .LBB6_2
.LBB6_5:
	s_add_u32 s0, s2, s4
	s_addc_u32 s1, s3, s5
	s_waitcnt vmcnt(0)
	global_store_dword v1, v2, s[0:1]
	s_endpgm
	.section	.rodata,"a",@progbits
	.p2align	6, 0x0
	.amdhsa_kernel _Z6kernelI13subtract_leftLj256ELj1ELb0EJPfS1_jEEvDpT3_
		.amdhsa_group_segment_fixed_size 2048
		.amdhsa_private_segment_fixed_size 0
		.amdhsa_kernarg_size 20
		.amdhsa_user_sgpr_count 6
		.amdhsa_user_sgpr_private_segment_buffer 1
		.amdhsa_user_sgpr_dispatch_ptr 0
		.amdhsa_user_sgpr_queue_ptr 0
		.amdhsa_user_sgpr_kernarg_segment_ptr 1
		.amdhsa_user_sgpr_dispatch_id 0
		.amdhsa_user_sgpr_flat_scratch_init 0
		.amdhsa_user_sgpr_kernarg_preload_length 0
		.amdhsa_user_sgpr_kernarg_preload_offset 0
		.amdhsa_user_sgpr_private_segment_size 0
		.amdhsa_uses_dynamic_stack 0
		.amdhsa_system_sgpr_private_segment_wavefront_offset 0
		.amdhsa_system_sgpr_workgroup_id_x 1
		.amdhsa_system_sgpr_workgroup_id_y 0
		.amdhsa_system_sgpr_workgroup_id_z 0
		.amdhsa_system_sgpr_workgroup_info 0
		.amdhsa_system_vgpr_workitem_id 0
		.amdhsa_next_free_vgpr 4
		.amdhsa_next_free_sgpr 8
		.amdhsa_accum_offset 4
		.amdhsa_reserve_vcc 1
		.amdhsa_reserve_flat_scratch 0
		.amdhsa_float_round_mode_32 0
		.amdhsa_float_round_mode_16_64 0
		.amdhsa_float_denorm_mode_32 3
		.amdhsa_float_denorm_mode_16_64 3
		.amdhsa_dx10_clamp 1
		.amdhsa_ieee_mode 1
		.amdhsa_fp16_overflow 0
		.amdhsa_tg_split 0
		.amdhsa_exception_fp_ieee_invalid_op 0
		.amdhsa_exception_fp_denorm_src 0
		.amdhsa_exception_fp_ieee_div_zero 0
		.amdhsa_exception_fp_ieee_overflow 0
		.amdhsa_exception_fp_ieee_underflow 0
		.amdhsa_exception_fp_ieee_inexact 0
		.amdhsa_exception_int_div_zero 0
	.end_amdhsa_kernel
	.section	.text._Z6kernelI13subtract_leftLj256ELj1ELb0EJPfS1_jEEvDpT3_,"axG",@progbits,_Z6kernelI13subtract_leftLj256ELj1ELb0EJPfS1_jEEvDpT3_,comdat
.Lfunc_end6:
	.size	_Z6kernelI13subtract_leftLj256ELj1ELb0EJPfS1_jEEvDpT3_, .Lfunc_end6-_Z6kernelI13subtract_leftLj256ELj1ELb0EJPfS1_jEEvDpT3_
                                        ; -- End function
	.section	.AMDGPU.csdata,"",@progbits
; Kernel info:
; codeLenInByte = 172
; NumSgprs: 12
; NumVgprs: 4
; NumAgprs: 0
; TotalNumVgprs: 4
; ScratchSize: 0
; MemoryBound: 0
; FloatMode: 240
; IeeeMode: 1
; LDSByteSize: 2048 bytes/workgroup (compile time only)
; SGPRBlocks: 1
; VGPRBlocks: 0
; NumSGPRsForWavesPerEU: 12
; NumVGPRsForWavesPerEU: 4
; AccumOffset: 4
; Occupancy: 8
; WaveLimiterHint : 0
; COMPUTE_PGM_RSRC2:SCRATCH_EN: 0
; COMPUTE_PGM_RSRC2:USER_SGPR: 6
; COMPUTE_PGM_RSRC2:TRAP_HANDLER: 0
; COMPUTE_PGM_RSRC2:TGID_X_EN: 1
; COMPUTE_PGM_RSRC2:TGID_Y_EN: 0
; COMPUTE_PGM_RSRC2:TGID_Z_EN: 0
; COMPUTE_PGM_RSRC2:TIDIG_COMP_CNT: 0
; COMPUTE_PGM_RSRC3_GFX90A:ACCUM_OFFSET: 0
; COMPUTE_PGM_RSRC3_GFX90A:TG_SPLIT: 0
	.section	.text._Z6kernelI13subtract_leftLj256ELj3ELb0EJPfS1_jEEvDpT3_,"axG",@progbits,_Z6kernelI13subtract_leftLj256ELj3ELb0EJPfS1_jEEvDpT3_,comdat
	.protected	_Z6kernelI13subtract_leftLj256ELj3ELb0EJPfS1_jEEvDpT3_ ; -- Begin function _Z6kernelI13subtract_leftLj256ELj3ELb0EJPfS1_jEEvDpT3_
	.globl	_Z6kernelI13subtract_leftLj256ELj3ELb0EJPfS1_jEEvDpT3_
	.p2align	8
	.type	_Z6kernelI13subtract_leftLj256ELj3ELb0EJPfS1_jEEvDpT3_,@function
_Z6kernelI13subtract_leftLj256ELj3ELb0EJPfS1_jEEvDpT3_: ; @_Z6kernelI13subtract_leftLj256ELj3ELb0EJPfS1_jEEvDpT3_
; %bb.0:
	s_load_dwordx4 s[0:3], s[4:5], 0x0
	s_load_dword s7, s[4:5], 0x10
	s_mul_i32 s4, s6, 0x300
	s_mov_b32 s5, 0
	s_lshl_b64 s[4:5], s[4:5], 2
	s_waitcnt lgkmcnt(0)
	s_add_u32 s0, s0, s4
	s_addc_u32 s1, s1, s5
	v_lshlrev_b32_e32 v7, 2, v0
	global_load_dword v2, v7, s[0:1]
	global_load_dword v8, v7, s[0:1] offset:1024
	global_load_dword v9, v7, s[0:1] offset:2048
	s_cmp_eq_u32 s7, 0
	s_cbranch_scc1 .LBB7_5
; %bb.1:
	v_cmp_ne_u32_e32 vcc, 0, v0
	v_add_u32_e32 v10, -4, v7
	s_branch .LBB7_3
.LBB7_2:                                ;   in Loop: Header=BB7_3 Depth=1
	s_or_b64 exec, exec, s[0:1]
	s_add_i32 s7, s7, -1
	v_add_f32_e32 v2, v2, v4
	v_add_f32_e32 v8, v8, v0
	;; [unrolled: 1-line block ×3, first 2 shown]
	s_cmp_lg_u32 s7, 0
	s_barrier
	s_cbranch_scc0 .LBB7_5
.LBB7_3:                                ; =>This Inner Loop Header: Depth=1
	s_waitcnt vmcnt(1)
	v_mov_b32_e32 v3, v8
	v_mov_b32_e32 v6, v4
	s_waitcnt vmcnt(0)
	v_pk_add_f32 v[0:1], v[8:9], v[2:3] neg_lo:[0,1] neg_hi:[0,1]
	v_mov_b32_e32 v5, v3
	v_mov_b32_e32 v4, v2
	ds_write_b32 v7, v9
	s_waitcnt lgkmcnt(0)
	s_barrier
	s_and_saveexec_b64 s[0:1], vcc
	s_cbranch_execz .LBB7_2
; %bb.4:                                ;   in Loop: Header=BB7_3 Depth=1
	ds_read_b32 v3, v10
	s_waitcnt lgkmcnt(0)
	v_sub_f32_e32 v4, v2, v3
	s_branch .LBB7_2
.LBB7_5:
	s_add_u32 s0, s2, s4
	s_addc_u32 s1, s3, s5
	s_waitcnt vmcnt(2)
	global_store_dword v7, v2, s[0:1]
	s_waitcnt vmcnt(2)
	global_store_dword v7, v8, s[0:1] offset:1024
	s_waitcnt vmcnt(2)
	global_store_dword v7, v9, s[0:1] offset:2048
	s_endpgm
	.section	.rodata,"a",@progbits
	.p2align	6, 0x0
	.amdhsa_kernel _Z6kernelI13subtract_leftLj256ELj3ELb0EJPfS1_jEEvDpT3_
		.amdhsa_group_segment_fixed_size 2048
		.amdhsa_private_segment_fixed_size 0
		.amdhsa_kernarg_size 20
		.amdhsa_user_sgpr_count 6
		.amdhsa_user_sgpr_private_segment_buffer 1
		.amdhsa_user_sgpr_dispatch_ptr 0
		.amdhsa_user_sgpr_queue_ptr 0
		.amdhsa_user_sgpr_kernarg_segment_ptr 1
		.amdhsa_user_sgpr_dispatch_id 0
		.amdhsa_user_sgpr_flat_scratch_init 0
		.amdhsa_user_sgpr_kernarg_preload_length 0
		.amdhsa_user_sgpr_kernarg_preload_offset 0
		.amdhsa_user_sgpr_private_segment_size 0
		.amdhsa_uses_dynamic_stack 0
		.amdhsa_system_sgpr_private_segment_wavefront_offset 0
		.amdhsa_system_sgpr_workgroup_id_x 1
		.amdhsa_system_sgpr_workgroup_id_y 0
		.amdhsa_system_sgpr_workgroup_id_z 0
		.amdhsa_system_sgpr_workgroup_info 0
		.amdhsa_system_vgpr_workitem_id 0
		.amdhsa_next_free_vgpr 11
		.amdhsa_next_free_sgpr 8
		.amdhsa_accum_offset 12
		.amdhsa_reserve_vcc 1
		.amdhsa_reserve_flat_scratch 0
		.amdhsa_float_round_mode_32 0
		.amdhsa_float_round_mode_16_64 0
		.amdhsa_float_denorm_mode_32 3
		.amdhsa_float_denorm_mode_16_64 3
		.amdhsa_dx10_clamp 1
		.amdhsa_ieee_mode 1
		.amdhsa_fp16_overflow 0
		.amdhsa_tg_split 0
		.amdhsa_exception_fp_ieee_invalid_op 0
		.amdhsa_exception_fp_denorm_src 0
		.amdhsa_exception_fp_ieee_div_zero 0
		.amdhsa_exception_fp_ieee_overflow 0
		.amdhsa_exception_fp_ieee_underflow 0
		.amdhsa_exception_fp_ieee_inexact 0
		.amdhsa_exception_int_div_zero 0
	.end_amdhsa_kernel
	.section	.text._Z6kernelI13subtract_leftLj256ELj3ELb0EJPfS1_jEEvDpT3_,"axG",@progbits,_Z6kernelI13subtract_leftLj256ELj3ELb0EJPfS1_jEEvDpT3_,comdat
.Lfunc_end7:
	.size	_Z6kernelI13subtract_leftLj256ELj3ELb0EJPfS1_jEEvDpT3_, .Lfunc_end7-_Z6kernelI13subtract_leftLj256ELj3ELb0EJPfS1_jEEvDpT3_
                                        ; -- End function
	.section	.AMDGPU.csdata,"",@progbits
; Kernel info:
; codeLenInByte = 248
; NumSgprs: 12
; NumVgprs: 11
; NumAgprs: 0
; TotalNumVgprs: 11
; ScratchSize: 0
; MemoryBound: 0
; FloatMode: 240
; IeeeMode: 1
; LDSByteSize: 2048 bytes/workgroup (compile time only)
; SGPRBlocks: 1
; VGPRBlocks: 1
; NumSGPRsForWavesPerEU: 12
; NumVGPRsForWavesPerEU: 11
; AccumOffset: 12
; Occupancy: 8
; WaveLimiterHint : 1
; COMPUTE_PGM_RSRC2:SCRATCH_EN: 0
; COMPUTE_PGM_RSRC2:USER_SGPR: 6
; COMPUTE_PGM_RSRC2:TRAP_HANDLER: 0
; COMPUTE_PGM_RSRC2:TGID_X_EN: 1
; COMPUTE_PGM_RSRC2:TGID_Y_EN: 0
; COMPUTE_PGM_RSRC2:TGID_Z_EN: 0
; COMPUTE_PGM_RSRC2:TIDIG_COMP_CNT: 0
; COMPUTE_PGM_RSRC3_GFX90A:ACCUM_OFFSET: 2
; COMPUTE_PGM_RSRC3_GFX90A:TG_SPLIT: 0
	.section	.text._Z6kernelI13subtract_leftLj256ELj4ELb0EJPfS1_jEEvDpT3_,"axG",@progbits,_Z6kernelI13subtract_leftLj256ELj4ELb0EJPfS1_jEEvDpT3_,comdat
	.protected	_Z6kernelI13subtract_leftLj256ELj4ELb0EJPfS1_jEEvDpT3_ ; -- Begin function _Z6kernelI13subtract_leftLj256ELj4ELb0EJPfS1_jEEvDpT3_
	.globl	_Z6kernelI13subtract_leftLj256ELj4ELb0EJPfS1_jEEvDpT3_
	.p2align	8
	.type	_Z6kernelI13subtract_leftLj256ELj4ELb0EJPfS1_jEEvDpT3_,@function
_Z6kernelI13subtract_leftLj256ELj4ELb0EJPfS1_jEEvDpT3_: ; @_Z6kernelI13subtract_leftLj256ELj4ELb0EJPfS1_jEEvDpT3_
; %bb.0:
	s_load_dwordx4 s[0:3], s[4:5], 0x0
	s_load_dword s7, s[4:5], 0x10
	s_lshl_b32 s4, s6, 10
	s_mov_b32 s5, 0
	s_lshl_b64 s[4:5], s[4:5], 2
	s_waitcnt lgkmcnt(0)
	s_add_u32 s0, s0, s4
	s_addc_u32 s1, s1, s5
	v_lshlrev_b32_e32 v14, 2, v0
	global_load_dword v2, v14, s[0:1]
	global_load_dword v10, v14, s[0:1] offset:1024
	global_load_dword v11, v14, s[0:1] offset:2048
	;; [unrolled: 1-line block ×3, first 2 shown]
	s_cmp_eq_u32 s7, 0
	s_cbranch_scc1 .LBB8_5
; %bb.1:
	v_cmp_ne_u32_e32 vcc, 0, v0
	v_add_u32_e32 v15, -4, v14
	s_branch .LBB8_3
.LBB8_2:                                ;   in Loop: Header=BB8_3 Depth=1
	s_or_b64 exec, exec, s[0:1]
	v_mov_b32_e32 v3, v10
	v_mov_b32_e32 v0, v13
	v_mov_b32_e32 v4, v11
	v_mov_b32_e32 v7, v12
	v_pk_add_f32 v[4:5], v[4:5], v[0:1]
	v_pk_add_f32 v[2:3], v[2:3], v[6:7]
	s_add_i32 s7, s7, -1
	v_mov_b32_e32 v10, v3
	s_cmp_lg_u32 s7, 0
	v_mov_b32_e32 v11, v4
	s_barrier
	s_cbranch_scc0 .LBB8_5
.LBB8_3:                                ; =>This Inner Loop Header: Depth=1
	s_waitcnt vmcnt(2)
	v_mov_b32_e32 v3, v10
	s_waitcnt vmcnt(0)
	v_pk_mov_b32 v[8:9], v[4:5], v[4:5] op_sel:[0,1]
	v_sub_f32_e32 v1, v5, v11
	v_pk_add_f32 v[12:13], v[10:11], v[2:3] neg_lo:[0,1] neg_hi:[0,1]
	v_pk_mov_b32 v[6:7], v[2:3], v[2:3] op_sel:[0,1]
	ds_write_b32 v14, v5
	s_waitcnt lgkmcnt(0)
	s_barrier
	s_and_saveexec_b64 s[0:1], vcc
	s_cbranch_execz .LBB8_2
; %bb.4:                                ;   in Loop: Header=BB8_3 Depth=1
	ds_read_b32 v0, v15
	s_waitcnt lgkmcnt(0)
	v_sub_f32_e32 v6, v2, v0
	s_branch .LBB8_2
.LBB8_5:
	s_add_u32 s0, s2, s4
	s_addc_u32 s1, s3, s5
	s_waitcnt vmcnt(3)
	global_store_dword v14, v2, s[0:1]
	s_waitcnt vmcnt(3)
	global_store_dword v14, v10, s[0:1] offset:1024
	s_waitcnt vmcnt(3)
	global_store_dword v14, v11, s[0:1] offset:2048
	;; [unrolled: 2-line block ×3, first 2 shown]
	s_endpgm
	.section	.rodata,"a",@progbits
	.p2align	6, 0x0
	.amdhsa_kernel _Z6kernelI13subtract_leftLj256ELj4ELb0EJPfS1_jEEvDpT3_
		.amdhsa_group_segment_fixed_size 2048
		.amdhsa_private_segment_fixed_size 0
		.amdhsa_kernarg_size 20
		.amdhsa_user_sgpr_count 6
		.amdhsa_user_sgpr_private_segment_buffer 1
		.amdhsa_user_sgpr_dispatch_ptr 0
		.amdhsa_user_sgpr_queue_ptr 0
		.amdhsa_user_sgpr_kernarg_segment_ptr 1
		.amdhsa_user_sgpr_dispatch_id 0
		.amdhsa_user_sgpr_flat_scratch_init 0
		.amdhsa_user_sgpr_kernarg_preload_length 0
		.amdhsa_user_sgpr_kernarg_preload_offset 0
		.amdhsa_user_sgpr_private_segment_size 0
		.amdhsa_uses_dynamic_stack 0
		.amdhsa_system_sgpr_private_segment_wavefront_offset 0
		.amdhsa_system_sgpr_workgroup_id_x 1
		.amdhsa_system_sgpr_workgroup_id_y 0
		.amdhsa_system_sgpr_workgroup_id_z 0
		.amdhsa_system_sgpr_workgroup_info 0
		.amdhsa_system_vgpr_workitem_id 0
		.amdhsa_next_free_vgpr 16
		.amdhsa_next_free_sgpr 8
		.amdhsa_accum_offset 16
		.amdhsa_reserve_vcc 1
		.amdhsa_reserve_flat_scratch 0
		.amdhsa_float_round_mode_32 0
		.amdhsa_float_round_mode_16_64 0
		.amdhsa_float_denorm_mode_32 3
		.amdhsa_float_denorm_mode_16_64 3
		.amdhsa_dx10_clamp 1
		.amdhsa_ieee_mode 1
		.amdhsa_fp16_overflow 0
		.amdhsa_tg_split 0
		.amdhsa_exception_fp_ieee_invalid_op 0
		.amdhsa_exception_fp_denorm_src 0
		.amdhsa_exception_fp_ieee_div_zero 0
		.amdhsa_exception_fp_ieee_overflow 0
		.amdhsa_exception_fp_ieee_underflow 0
		.amdhsa_exception_fp_ieee_inexact 0
		.amdhsa_exception_int_div_zero 0
	.end_amdhsa_kernel
	.section	.text._Z6kernelI13subtract_leftLj256ELj4ELb0EJPfS1_jEEvDpT3_,"axG",@progbits,_Z6kernelI13subtract_leftLj256ELj4ELb0EJPfS1_jEEvDpT3_,comdat
.Lfunc_end8:
	.size	_Z6kernelI13subtract_leftLj256ELj4ELb0EJPfS1_jEEvDpT3_, .Lfunc_end8-_Z6kernelI13subtract_leftLj256ELj4ELb0EJPfS1_jEEvDpT3_
                                        ; -- End function
	.section	.AMDGPU.csdata,"",@progbits
; Kernel info:
; codeLenInByte = 300
; NumSgprs: 12
; NumVgprs: 16
; NumAgprs: 0
; TotalNumVgprs: 16
; ScratchSize: 0
; MemoryBound: 0
; FloatMode: 240
; IeeeMode: 1
; LDSByteSize: 2048 bytes/workgroup (compile time only)
; SGPRBlocks: 1
; VGPRBlocks: 1
; NumSGPRsForWavesPerEU: 12
; NumVGPRsForWavesPerEU: 16
; AccumOffset: 16
; Occupancy: 8
; WaveLimiterHint : 1
; COMPUTE_PGM_RSRC2:SCRATCH_EN: 0
; COMPUTE_PGM_RSRC2:USER_SGPR: 6
; COMPUTE_PGM_RSRC2:TRAP_HANDLER: 0
; COMPUTE_PGM_RSRC2:TGID_X_EN: 1
; COMPUTE_PGM_RSRC2:TGID_Y_EN: 0
; COMPUTE_PGM_RSRC2:TGID_Z_EN: 0
; COMPUTE_PGM_RSRC2:TIDIG_COMP_CNT: 0
; COMPUTE_PGM_RSRC3_GFX90A:ACCUM_OFFSET: 3
; COMPUTE_PGM_RSRC3_GFX90A:TG_SPLIT: 0
	.section	.text._Z6kernelI13subtract_leftLj256ELj8ELb0EJPfS1_jEEvDpT3_,"axG",@progbits,_Z6kernelI13subtract_leftLj256ELj8ELb0EJPfS1_jEEvDpT3_,comdat
	.protected	_Z6kernelI13subtract_leftLj256ELj8ELb0EJPfS1_jEEvDpT3_ ; -- Begin function _Z6kernelI13subtract_leftLj256ELj8ELb0EJPfS1_jEEvDpT3_
	.globl	_Z6kernelI13subtract_leftLj256ELj8ELb0EJPfS1_jEEvDpT3_
	.p2align	8
	.type	_Z6kernelI13subtract_leftLj256ELj8ELb0EJPfS1_jEEvDpT3_,@function
_Z6kernelI13subtract_leftLj256ELj8ELb0EJPfS1_jEEvDpT3_: ; @_Z6kernelI13subtract_leftLj256ELj8ELb0EJPfS1_jEEvDpT3_
; %bb.0:
	s_load_dwordx4 s[0:3], s[4:5], 0x0
	s_load_dword s7, s[4:5], 0x10
	s_lshl_b32 s4, s6, 11
	s_mov_b32 s5, 0
	s_lshl_b64 s[4:5], s[4:5], 2
	s_waitcnt lgkmcnt(0)
	s_add_u32 s0, s0, s4
	s_addc_u32 s1, s1, s5
	v_lshlrev_b32_e32 v16, 2, v0
	v_mov_b32_e32 v1, s1
	v_add_co_u32_e32 v2, vcc, s0, v16
	v_addc_co_u32_e32 v1, vcc, 0, v1, vcc
	v_add_co_u32_e32 v18, vcc, 0x1000, v2
	v_addc_co_u32_e32 v19, vcc, 0, v1, vcc
	global_load_dword v6, v16, s[0:1]
	global_load_dword v10, v16, s[0:1] offset:1024
	global_load_dword v8, v16, s[0:1] offset:2048
	;; [unrolled: 1-line block ×3, first 2 shown]
	global_load_dword v4, v[18:19], off
	global_load_dword v14, v[18:19], off offset:1024
	global_load_dword v2, v[18:19], off offset:2048
	;; [unrolled: 1-line block ×3, first 2 shown]
	s_cmp_eq_u32 s7, 0
	s_cbranch_scc1 .LBB9_5
; %bb.1:
	v_cmp_ne_u32_e32 vcc, 0, v0
	v_add_u32_e32 v17, -4, v16
	s_branch .LBB9_3
.LBB9_2:                                ;   in Loop: Header=BB9_3 Depth=1
	s_or_b64 exec, exec, s[0:1]
	v_mov_b32_e32 v15, v2
	v_mov_b32_e32 v5, v14
	;; [unrolled: 1-line block ×5, first 2 shown]
	v_pk_add_f32 v[18:19], v[2:3], v[14:15] neg_lo:[0,1] neg_hi:[0,1]
	v_pk_add_f32 v[14:15], v[4:5], v[12:13] neg_lo:[0,1] neg_hi:[0,1]
	;; [unrolled: 1-line block ×3, first 2 shown]
	v_sub_f32_e32 v1, v10, v6
	v_mov_b32_e32 v7, v10
	v_pk_add_f32 v[6:7], v[6:7], v[0:1]
	v_pk_add_f32 v[8:9], v[8:9], v[12:13]
	;; [unrolled: 1-line block ×3, first 2 shown]
	s_add_i32 s7, s7, -1
	v_pk_add_f32 v[2:3], v[2:3], v[18:19]
	v_mov_b32_e32 v10, v7
	v_mov_b32_e32 v12, v9
	s_cmp_lg_u32 s7, 0
	v_mov_b32_e32 v14, v5
	s_barrier
	s_cbranch_scc0 .LBB9_5
.LBB9_3:                                ; =>This Inner Loop Header: Depth=1
	s_waitcnt vmcnt(7)
	v_mov_b32_e32 v0, v6
	s_waitcnt vmcnt(0)
	ds_write_b32 v16, v3
	s_waitcnt lgkmcnt(0)
	s_barrier
	s_and_saveexec_b64 s[0:1], vcc
	s_cbranch_execz .LBB9_2
; %bb.4:                                ;   in Loop: Header=BB9_3 Depth=1
	ds_read_b32 v0, v17
	s_waitcnt lgkmcnt(0)
	v_sub_f32_e32 v0, v6, v0
	s_branch .LBB9_2
.LBB9_5:
	s_add_u32 s0, s2, s4
	s_addc_u32 s1, s3, s5
	v_mov_b32_e32 v0, s1
	v_add_co_u32_e32 v1, vcc, s0, v16
	v_addc_co_u32_e32 v5, vcc, 0, v0, vcc
	v_add_co_u32_e32 v0, vcc, 0x1000, v1
	v_addc_co_u32_e32 v1, vcc, 0, v5, vcc
	s_waitcnt vmcnt(7)
	global_store_dword v16, v6, s[0:1]
	s_waitcnt vmcnt(7)
	global_store_dword v16, v10, s[0:1] offset:1024
	s_waitcnt vmcnt(7)
	global_store_dword v16, v8, s[0:1] offset:2048
	s_waitcnt vmcnt(7)
	global_store_dword v16, v12, s[0:1] offset:3072
	s_waitcnt vmcnt(7)
	global_store_dword v[0:1], v4, off
	s_waitcnt vmcnt(7)
	global_store_dword v[0:1], v14, off offset:1024
	s_waitcnt vmcnt(7)
	global_store_dword v[0:1], v2, off offset:2048
	;; [unrolled: 2-line block ×3, first 2 shown]
	s_endpgm
	.section	.rodata,"a",@progbits
	.p2align	6, 0x0
	.amdhsa_kernel _Z6kernelI13subtract_leftLj256ELj8ELb0EJPfS1_jEEvDpT3_
		.amdhsa_group_segment_fixed_size 2048
		.amdhsa_private_segment_fixed_size 0
		.amdhsa_kernarg_size 20
		.amdhsa_user_sgpr_count 6
		.amdhsa_user_sgpr_private_segment_buffer 1
		.amdhsa_user_sgpr_dispatch_ptr 0
		.amdhsa_user_sgpr_queue_ptr 0
		.amdhsa_user_sgpr_kernarg_segment_ptr 1
		.amdhsa_user_sgpr_dispatch_id 0
		.amdhsa_user_sgpr_flat_scratch_init 0
		.amdhsa_user_sgpr_kernarg_preload_length 0
		.amdhsa_user_sgpr_kernarg_preload_offset 0
		.amdhsa_user_sgpr_private_segment_size 0
		.amdhsa_uses_dynamic_stack 0
		.amdhsa_system_sgpr_private_segment_wavefront_offset 0
		.amdhsa_system_sgpr_workgroup_id_x 1
		.amdhsa_system_sgpr_workgroup_id_y 0
		.amdhsa_system_sgpr_workgroup_id_z 0
		.amdhsa_system_sgpr_workgroup_info 0
		.amdhsa_system_vgpr_workitem_id 0
		.amdhsa_next_free_vgpr 20
		.amdhsa_next_free_sgpr 8
		.amdhsa_accum_offset 20
		.amdhsa_reserve_vcc 1
		.amdhsa_reserve_flat_scratch 0
		.amdhsa_float_round_mode_32 0
		.amdhsa_float_round_mode_16_64 0
		.amdhsa_float_denorm_mode_32 3
		.amdhsa_float_denorm_mode_16_64 3
		.amdhsa_dx10_clamp 1
		.amdhsa_ieee_mode 1
		.amdhsa_fp16_overflow 0
		.amdhsa_tg_split 0
		.amdhsa_exception_fp_ieee_invalid_op 0
		.amdhsa_exception_fp_denorm_src 0
		.amdhsa_exception_fp_ieee_div_zero 0
		.amdhsa_exception_fp_ieee_overflow 0
		.amdhsa_exception_fp_ieee_underflow 0
		.amdhsa_exception_fp_ieee_inexact 0
		.amdhsa_exception_int_div_zero 0
	.end_amdhsa_kernel
	.section	.text._Z6kernelI13subtract_leftLj256ELj8ELb0EJPfS1_jEEvDpT3_,"axG",@progbits,_Z6kernelI13subtract_leftLj256ELj8ELb0EJPfS1_jEEvDpT3_,comdat
.Lfunc_end9:
	.size	_Z6kernelI13subtract_leftLj256ELj8ELb0EJPfS1_jEEvDpT3_, .Lfunc_end9-_Z6kernelI13subtract_leftLj256ELj8ELb0EJPfS1_jEEvDpT3_
                                        ; -- End function
	.section	.AMDGPU.csdata,"",@progbits
; Kernel info:
; codeLenInByte = 456
; NumSgprs: 12
; NumVgprs: 20
; NumAgprs: 0
; TotalNumVgprs: 20
; ScratchSize: 0
; MemoryBound: 0
; FloatMode: 240
; IeeeMode: 1
; LDSByteSize: 2048 bytes/workgroup (compile time only)
; SGPRBlocks: 1
; VGPRBlocks: 2
; NumSGPRsForWavesPerEU: 12
; NumVGPRsForWavesPerEU: 20
; AccumOffset: 20
; Occupancy: 8
; WaveLimiterHint : 1
; COMPUTE_PGM_RSRC2:SCRATCH_EN: 0
; COMPUTE_PGM_RSRC2:USER_SGPR: 6
; COMPUTE_PGM_RSRC2:TRAP_HANDLER: 0
; COMPUTE_PGM_RSRC2:TGID_X_EN: 1
; COMPUTE_PGM_RSRC2:TGID_Y_EN: 0
; COMPUTE_PGM_RSRC2:TGID_Z_EN: 0
; COMPUTE_PGM_RSRC2:TIDIG_COMP_CNT: 0
; COMPUTE_PGM_RSRC3_GFX90A:ACCUM_OFFSET: 4
; COMPUTE_PGM_RSRC3_GFX90A:TG_SPLIT: 0
	.section	.text._Z6kernelI13subtract_leftLj256ELj16ELb0EJPfS1_jEEvDpT3_,"axG",@progbits,_Z6kernelI13subtract_leftLj256ELj16ELb0EJPfS1_jEEvDpT3_,comdat
	.protected	_Z6kernelI13subtract_leftLj256ELj16ELb0EJPfS1_jEEvDpT3_ ; -- Begin function _Z6kernelI13subtract_leftLj256ELj16ELb0EJPfS1_jEEvDpT3_
	.globl	_Z6kernelI13subtract_leftLj256ELj16ELb0EJPfS1_jEEvDpT3_
	.p2align	8
	.type	_Z6kernelI13subtract_leftLj256ELj16ELb0EJPfS1_jEEvDpT3_,@function
_Z6kernelI13subtract_leftLj256ELj16ELb0EJPfS1_jEEvDpT3_: ; @_Z6kernelI13subtract_leftLj256ELj16ELb0EJPfS1_jEEvDpT3_
; %bb.0:
	s_load_dwordx4 s[0:3], s[4:5], 0x0
	s_load_dword s7, s[4:5], 0x10
	s_lshl_b32 s4, s6, 12
	s_mov_b32 s5, 0
	s_lshl_b64 s[4:5], s[4:5], 2
	s_waitcnt lgkmcnt(0)
	s_add_u32 s0, s0, s4
	s_addc_u32 s1, s1, s5
	v_lshlrev_b32_e32 v1, 2, v0
	v_mov_b32_e32 v2, s1
	v_add_co_u32_e32 v6, vcc, s0, v1
	v_addc_co_u32_e32 v7, vcc, 0, v2, vcc
	s_movk_i32 s6, 0x1000
	v_add_co_u32_e32 v18, vcc, s6, v6
	v_addc_co_u32_e32 v19, vcc, 0, v7, vcc
	s_movk_i32 s6, 0x2000
	v_add_co_u32_e32 v20, vcc, s6, v6
	v_addc_co_u32_e32 v21, vcc, 0, v7, vcc
	v_add_co_u32_e32 v22, vcc, 0x3000, v6
	global_load_dword v2, v[20:21], off
	global_load_dword v3, v[20:21], off offset:1024
	global_load_dword v4, v[20:21], off offset:2048
	;; [unrolled: 1-line block ×3, first 2 shown]
	v_addc_co_u32_e32 v23, vcc, 0, v7, vcc
	global_load_dword v15, v1, s[0:1]
	global_load_dword v14, v1, s[0:1] offset:1024
	global_load_dword v16, v1, s[0:1] offset:2048
	;; [unrolled: 1-line block ×3, first 2 shown]
	global_load_dword v13, v[18:19], off offset:1024
	global_load_dword v10, v[18:19], off offset:2048
	global_load_dword v11, v[18:19], off offset:3072
	global_load_dword v6, v[22:23], off
	global_load_dword v7, v[22:23], off offset:1024
	global_load_dword v8, v[22:23], off offset:2048
	global_load_dword v12, v[20:21], off offset:-4096
	global_load_dword v9, v[22:23], off offset:3072
	s_cmp_eq_u32 s7, 0
	s_cbranch_scc1 .LBB10_5
; %bb.1:
	v_cmp_ne_u32_e32 vcc, 0, v0
	v_add_u32_e32 v0, -4, v1
	s_branch .LBB10_3
.LBB10_2:                               ;   in Loop: Header=BB10_3 Depth=1
	s_or_b64 exec, exec, s[0:1]
	v_mov_b32_e32 v34, v15
	v_mov_b32_e32 v20, v7
	;; [unrolled: 1-line block ×15, first 2 shown]
	v_pk_add_f32 v[34:35], v[14:15], v[34:35] neg_lo:[0,1] neg_hi:[0,1]
	v_pk_add_f32 v[20:21], v[8:9], v[20:21] neg_lo:[0,1] neg_hi:[0,1]
	v_pk_add_f32 v[22:23], v[6:7], v[22:23] neg_lo:[0,1] neg_hi:[0,1]
	v_pk_add_f32 v[24:25], v[4:5], v[24:25] neg_lo:[0,1] neg_hi:[0,1]
	v_pk_add_f32 v[26:27], v[2:3], v[26:27] neg_lo:[0,1] neg_hi:[0,1]
	v_pk_add_f32 v[28:29], v[10:11], v[28:29] neg_lo:[0,1] neg_hi:[0,1]
	v_pk_add_f32 v[30:31], v[12:13], v[30:31] neg_lo:[0,1] neg_hi:[0,1]
	v_pk_add_f32 v[32:33], v[16:17], v[32:33] neg_lo:[0,1] neg_hi:[0,1]
	v_mov_b32_e32 v35, v18
	s_add_i32 s7, s7, -1
	v_pk_add_f32 v[14:15], v[14:15], v[34:35]
	v_pk_add_f32 v[16:17], v[16:17], v[32:33]
	;; [unrolled: 1-line block ×8, first 2 shown]
	s_cmp_lg_u32 s7, 0
	s_barrier
	s_cbranch_scc0 .LBB10_5
.LBB10_3:                               ; =>This Inner Loop Header: Depth=1
	s_waitcnt vmcnt(11)
	v_mov_b32_e32 v18, v15
	s_waitcnt vmcnt(0)
	ds_write_b32 v1, v9
	s_waitcnt lgkmcnt(0)
	s_barrier
	s_and_saveexec_b64 s[0:1], vcc
	s_cbranch_execz .LBB10_2
; %bb.4:                                ;   in Loop: Header=BB10_3 Depth=1
	ds_read_b32 v18, v0
	s_waitcnt lgkmcnt(0)
	v_sub_f32_e32 v18, v15, v18
	s_branch .LBB10_2
.LBB10_5:
	s_add_u32 s0, s2, s4
	s_addc_u32 s1, s3, s5
	v_mov_b32_e32 v0, s1
	v_add_co_u32_e32 v18, vcc, s0, v1
	v_addc_co_u32_e32 v19, vcc, 0, v0, vcc
	v_add_co_u32_e32 v0, vcc, 0x1000, v18
	s_waitcnt vmcnt(11)
	global_store_dword v1, v15, s[0:1]
	s_waitcnt vmcnt(11)
	global_store_dword v1, v14, s[0:1] offset:1024
	s_waitcnt vmcnt(11)
	global_store_dword v1, v16, s[0:1] offset:2048
	;; [unrolled: 2-line block ×3, first 2 shown]
	v_addc_co_u32_e32 v1, vcc, 0, v19, vcc
	s_waitcnt vmcnt(5)
	global_store_dword v[0:1], v12, off
	global_store_dword v[0:1], v13, off offset:1024
	global_store_dword v[0:1], v10, off offset:2048
	;; [unrolled: 1-line block ×3, first 2 shown]
	v_add_co_u32_e32 v0, vcc, 0x2000, v18
	v_addc_co_u32_e32 v1, vcc, 0, v19, vcc
	global_store_dword v[0:1], v2, off
	global_store_dword v[0:1], v3, off offset:1024
	global_store_dword v[0:1], v4, off offset:2048
	;; [unrolled: 1-line block ×3, first 2 shown]
	v_add_co_u32_e32 v0, vcc, 0x3000, v18
	v_addc_co_u32_e32 v1, vcc, 0, v19, vcc
	global_store_dword v[0:1], v6, off
	global_store_dword v[0:1], v7, off offset:1024
	global_store_dword v[0:1], v8, off offset:2048
	s_waitcnt vmcnt(15)
	global_store_dword v[0:1], v9, off offset:3072
	s_endpgm
	.section	.rodata,"a",@progbits
	.p2align	6, 0x0
	.amdhsa_kernel _Z6kernelI13subtract_leftLj256ELj16ELb0EJPfS1_jEEvDpT3_
		.amdhsa_group_segment_fixed_size 2048
		.amdhsa_private_segment_fixed_size 0
		.amdhsa_kernarg_size 20
		.amdhsa_user_sgpr_count 6
		.amdhsa_user_sgpr_private_segment_buffer 1
		.amdhsa_user_sgpr_dispatch_ptr 0
		.amdhsa_user_sgpr_queue_ptr 0
		.amdhsa_user_sgpr_kernarg_segment_ptr 1
		.amdhsa_user_sgpr_dispatch_id 0
		.amdhsa_user_sgpr_flat_scratch_init 0
		.amdhsa_user_sgpr_kernarg_preload_length 0
		.amdhsa_user_sgpr_kernarg_preload_offset 0
		.amdhsa_user_sgpr_private_segment_size 0
		.amdhsa_uses_dynamic_stack 0
		.amdhsa_system_sgpr_private_segment_wavefront_offset 0
		.amdhsa_system_sgpr_workgroup_id_x 1
		.amdhsa_system_sgpr_workgroup_id_y 0
		.amdhsa_system_sgpr_workgroup_id_z 0
		.amdhsa_system_sgpr_workgroup_info 0
		.amdhsa_system_vgpr_workitem_id 0
		.amdhsa_next_free_vgpr 36
		.amdhsa_next_free_sgpr 8
		.amdhsa_accum_offset 36
		.amdhsa_reserve_vcc 1
		.amdhsa_reserve_flat_scratch 0
		.amdhsa_float_round_mode_32 0
		.amdhsa_float_round_mode_16_64 0
		.amdhsa_float_denorm_mode_32 3
		.amdhsa_float_denorm_mode_16_64 3
		.amdhsa_dx10_clamp 1
		.amdhsa_ieee_mode 1
		.amdhsa_fp16_overflow 0
		.amdhsa_tg_split 0
		.amdhsa_exception_fp_ieee_invalid_op 0
		.amdhsa_exception_fp_denorm_src 0
		.amdhsa_exception_fp_ieee_div_zero 0
		.amdhsa_exception_fp_ieee_overflow 0
		.amdhsa_exception_fp_ieee_underflow 0
		.amdhsa_exception_fp_ieee_inexact 0
		.amdhsa_exception_int_div_zero 0
	.end_amdhsa_kernel
	.section	.text._Z6kernelI13subtract_leftLj256ELj16ELb0EJPfS1_jEEvDpT3_,"axG",@progbits,_Z6kernelI13subtract_leftLj256ELj16ELb0EJPfS1_jEEvDpT3_,comdat
.Lfunc_end10:
	.size	_Z6kernelI13subtract_leftLj256ELj16ELb0EJPfS1_jEEvDpT3_, .Lfunc_end10-_Z6kernelI13subtract_leftLj256ELj16ELb0EJPfS1_jEEvDpT3_
                                        ; -- End function
	.section	.AMDGPU.csdata,"",@progbits
; Kernel info:
; codeLenInByte = 720
; NumSgprs: 12
; NumVgprs: 36
; NumAgprs: 0
; TotalNumVgprs: 36
; ScratchSize: 0
; MemoryBound: 0
; FloatMode: 240
; IeeeMode: 1
; LDSByteSize: 2048 bytes/workgroup (compile time only)
; SGPRBlocks: 1
; VGPRBlocks: 4
; NumSGPRsForWavesPerEU: 12
; NumVGPRsForWavesPerEU: 36
; AccumOffset: 36
; Occupancy: 8
; WaveLimiterHint : 1
; COMPUTE_PGM_RSRC2:SCRATCH_EN: 0
; COMPUTE_PGM_RSRC2:USER_SGPR: 6
; COMPUTE_PGM_RSRC2:TRAP_HANDLER: 0
; COMPUTE_PGM_RSRC2:TGID_X_EN: 1
; COMPUTE_PGM_RSRC2:TGID_Y_EN: 0
; COMPUTE_PGM_RSRC2:TGID_Z_EN: 0
; COMPUTE_PGM_RSRC2:TIDIG_COMP_CNT: 0
; COMPUTE_PGM_RSRC3_GFX90A:ACCUM_OFFSET: 8
; COMPUTE_PGM_RSRC3_GFX90A:TG_SPLIT: 0
	.section	.text._Z6kernelI13subtract_leftLj256ELj32ELb0EJPfS1_jEEvDpT3_,"axG",@progbits,_Z6kernelI13subtract_leftLj256ELj32ELb0EJPfS1_jEEvDpT3_,comdat
	.protected	_Z6kernelI13subtract_leftLj256ELj32ELb0EJPfS1_jEEvDpT3_ ; -- Begin function _Z6kernelI13subtract_leftLj256ELj32ELb0EJPfS1_jEEvDpT3_
	.globl	_Z6kernelI13subtract_leftLj256ELj32ELb0EJPfS1_jEEvDpT3_
	.p2align	8
	.type	_Z6kernelI13subtract_leftLj256ELj32ELb0EJPfS1_jEEvDpT3_,@function
_Z6kernelI13subtract_leftLj256ELj32ELb0EJPfS1_jEEvDpT3_: ; @_Z6kernelI13subtract_leftLj256ELj32ELb0EJPfS1_jEEvDpT3_
; %bb.0:
	s_load_dwordx4 s[0:3], s[4:5], 0x0
	s_load_dword s7, s[4:5], 0x10
	s_lshl_b32 s4, s6, 13
	s_mov_b32 s5, 0
	s_lshl_b64 s[4:5], s[4:5], 2
	s_waitcnt lgkmcnt(0)
	s_add_u32 s0, s0, s4
	s_addc_u32 s1, s1, s5
	v_lshlrev_b32_e32 v1, 2, v0
	v_mov_b32_e32 v2, s1
	v_add_co_u32_e32 v15, vcc, s0, v1
	v_addc_co_u32_e32 v18, vcc, 0, v2, vcc
	s_movk_i32 s6, 0x1000
	v_add_co_u32_e32 v6, vcc, s6, v15
	v_addc_co_u32_e32 v7, vcc, 0, v18, vcc
	s_movk_i32 s6, 0x2000
	;; [unrolled: 3-line block ×4, first 2 shown]
	v_add_co_u32_e32 v20, vcc, s6, v15
	v_addc_co_u32_e32 v21, vcc, 0, v18, vcc
	global_load_dword v27, v1, s[0:1]
	global_load_dword v26, v1, s[0:1] offset:1024
	global_load_dword v28, v1, s[0:1] offset:2048
	;; [unrolled: 1-line block ×3, first 2 shown]
	global_load_dword v19, v[6:7], off offset:1024
	global_load_dword v16, v[6:7], off offset:2048
	;; [unrolled: 1-line block ×4, first 2 shown]
	global_load_dword v10, v[34:35], off
	global_load_dword v11, v[34:35], off offset:1024
	global_load_dword v12, v[34:35], off offset:2048
	;; [unrolled: 1-line block ×3, first 2 shown]
	global_load_dword v4, v[20:21], off offset:-4096
	global_load_dword v2, v[20:21], off
	s_movk_i32 s0, 0x5000
	v_add_co_u32_e32 v38, vcc, s0, v15
	v_addc_co_u32_e32 v39, vcc, 0, v18, vcc
	s_movk_i32 s0, 0x6000
	v_add_co_u32_e32 v22, vcc, s0, v15
	v_addc_co_u32_e32 v23, vcc, 0, v18, vcc
	v_add_co_u32_e32 v40, vcc, 0x7000, v15
	global_load_dword v3, v[20:21], off offset:1024
	global_load_dword v24, v[20:21], off offset:2048
	;; [unrolled: 1-line block ×3, first 2 shown]
	global_load_dword v14, v[22:23], off offset:-4096
	global_load_dword v6, v[22:23], off
	global_load_dword v7, v[22:23], off offset:1024
	global_load_dword v8, v[22:23], off offset:2048
	;; [unrolled: 1-line block ×3, first 2 shown]
	v_addc_co_u32_e32 v41, vcc, 0, v18, vcc
	global_load_dword v32, v[36:37], off offset:2048
	global_load_dword v33, v[36:37], off offset:3072
	;; [unrolled: 1-line block ×5, first 2 shown]
	global_load_dword v20, v[40:41], off
	global_load_dword v21, v[40:41], off offset:1024
	global_load_dword v22, v[40:41], off offset:2048
	global_load_dword v18, v[34:35], off offset:-4096
	global_load_dword v23, v[40:41], off offset:3072
	s_cmp_eq_u32 s7, 0
	s_cbranch_scc1 .LBB11_5
; %bb.1:
	v_cmp_ne_u32_e32 vcc, 0, v0
	v_add_u32_e32 v0, -4, v1
	s_branch .LBB11_3
.LBB11_2:                               ;   in Loop: Header=BB11_3 Depth=1
	s_or_b64 exec, exec, s[0:1]
	v_mov_b32_e32 v60, v27
	v_pk_add_f32 v[60:61], v[26:27], v[60:61] neg_lo:[0,1] neg_hi:[0,1]
	v_mov_b32_e32 v61, v34
	v_mov_b32_e32 v34, v26
	v_mov_b32_e32 v35, v28
	v_pk_add_f32 v[34:35], v[28:29], v[34:35] neg_lo:[0,1] neg_hi:[0,1]
	v_mov_b32_e32 v36, v21
	v_mov_b32_e32 v37, v22
	;; [unrolled: 1-line block ×24, first 2 shown]
	v_pk_add_f32 v[26:27], v[26:27], v[60:61]
	v_mov_b32_e32 v60, v29
	v_pk_add_f32 v[28:29], v[28:29], v[34:35]
	v_mov_b32_e32 v34, v19
	v_mov_b32_e32 v35, v16
	;; [unrolled: 1-line block ×3, first 2 shown]
	v_pk_add_f32 v[36:37], v[22:23], v[36:37] neg_lo:[0,1] neg_hi:[0,1]
	v_pk_add_f32 v[38:39], v[20:21], v[38:39] neg_lo:[0,1] neg_hi:[0,1]
	;; [unrolled: 1-line block ×14, first 2 shown]
	s_add_i32 s7, s7, -1
	v_pk_add_f32 v[18:19], v[18:19], v[60:61]
	v_pk_add_f32 v[16:17], v[16:17], v[34:35]
	;; [unrolled: 1-line block ×14, first 2 shown]
	s_cmp_lg_u32 s7, 0
	s_barrier
	s_cbranch_scc0 .LBB11_5
.LBB11_3:                               ; =>This Inner Loop Header: Depth=1
	s_waitcnt vmcnt(31)
	v_mov_b32_e32 v34, v27
	s_waitcnt vmcnt(0)
	ds_write_b32 v1, v23
	s_waitcnt lgkmcnt(0)
	s_barrier
	s_and_saveexec_b64 s[0:1], vcc
	s_cbranch_execz .LBB11_2
; %bb.4:                                ;   in Loop: Header=BB11_3 Depth=1
	ds_read_b32 v34, v0
	s_waitcnt lgkmcnt(0)
	v_sub_f32_e32 v34, v27, v34
	s_branch .LBB11_2
.LBB11_5:
	s_add_u32 s0, s2, s4
	s_addc_u32 s1, s3, s5
	v_mov_b32_e32 v0, s1
	v_add_co_u32_e32 v34, vcc, s0, v1
	v_addc_co_u32_e32 v35, vcc, 0, v0, vcc
	v_add_co_u32_e32 v0, vcc, 0x1000, v34
	s_waitcnt vmcnt(31)
	global_store_dword v1, v27, s[0:1]
	s_waitcnt vmcnt(31)
	global_store_dword v1, v26, s[0:1] offset:1024
	s_waitcnt vmcnt(31)
	global_store_dword v1, v28, s[0:1] offset:2048
	s_waitcnt vmcnt(31)
	global_store_dword v1, v29, s[0:1] offset:3072
	v_addc_co_u32_e32 v1, vcc, 0, v35, vcc
	s_waitcnt vmcnt(5)
	global_store_dword v[0:1], v18, off
	global_store_dword v[0:1], v19, off offset:1024
	global_store_dword v[0:1], v16, off offset:2048
	global_store_dword v[0:1], v17, off offset:3072
	v_add_co_u32_e32 v0, vcc, 0x2000, v34
	v_addc_co_u32_e32 v1, vcc, 0, v35, vcc
	global_store_dword v[0:1], v10, off
	global_store_dword v[0:1], v11, off offset:1024
	global_store_dword v[0:1], v12, off offset:2048
	global_store_dword v[0:1], v13, off offset:3072
	v_add_co_u32_e32 v0, vcc, 0x3000, v34
	v_addc_co_u32_e32 v1, vcc, 0, v35, vcc
	;; [unrolled: 6-line block ×6, first 2 shown]
	global_store_dword v[0:1], v20, off
	global_store_dword v[0:1], v21, off offset:1024
	global_store_dword v[0:1], v22, off offset:2048
	s_waitcnt vmcnt(31)
	global_store_dword v[0:1], v23, off offset:3072
	s_endpgm
	.section	.rodata,"a",@progbits
	.p2align	6, 0x0
	.amdhsa_kernel _Z6kernelI13subtract_leftLj256ELj32ELb0EJPfS1_jEEvDpT3_
		.amdhsa_group_segment_fixed_size 2048
		.amdhsa_private_segment_fixed_size 0
		.amdhsa_kernarg_size 20
		.amdhsa_user_sgpr_count 6
		.amdhsa_user_sgpr_private_segment_buffer 1
		.amdhsa_user_sgpr_dispatch_ptr 0
		.amdhsa_user_sgpr_queue_ptr 0
		.amdhsa_user_sgpr_kernarg_segment_ptr 1
		.amdhsa_user_sgpr_dispatch_id 0
		.amdhsa_user_sgpr_flat_scratch_init 0
		.amdhsa_user_sgpr_kernarg_preload_length 0
		.amdhsa_user_sgpr_kernarg_preload_offset 0
		.amdhsa_user_sgpr_private_segment_size 0
		.amdhsa_uses_dynamic_stack 0
		.amdhsa_system_sgpr_private_segment_wavefront_offset 0
		.amdhsa_system_sgpr_workgroup_id_x 1
		.amdhsa_system_sgpr_workgroup_id_y 0
		.amdhsa_system_sgpr_workgroup_id_z 0
		.amdhsa_system_sgpr_workgroup_info 0
		.amdhsa_system_vgpr_workitem_id 0
		.amdhsa_next_free_vgpr 62
		.amdhsa_next_free_sgpr 8
		.amdhsa_accum_offset 64
		.amdhsa_reserve_vcc 1
		.amdhsa_reserve_flat_scratch 0
		.amdhsa_float_round_mode_32 0
		.amdhsa_float_round_mode_16_64 0
		.amdhsa_float_denorm_mode_32 3
		.amdhsa_float_denorm_mode_16_64 3
		.amdhsa_dx10_clamp 1
		.amdhsa_ieee_mode 1
		.amdhsa_fp16_overflow 0
		.amdhsa_tg_split 0
		.amdhsa_exception_fp_ieee_invalid_op 0
		.amdhsa_exception_fp_denorm_src 0
		.amdhsa_exception_fp_ieee_div_zero 0
		.amdhsa_exception_fp_ieee_overflow 0
		.amdhsa_exception_fp_ieee_underflow 0
		.amdhsa_exception_fp_ieee_inexact 0
		.amdhsa_exception_int_div_zero 0
	.end_amdhsa_kernel
	.section	.text._Z6kernelI13subtract_leftLj256ELj32ELb0EJPfS1_jEEvDpT3_,"axG",@progbits,_Z6kernelI13subtract_leftLj256ELj32ELb0EJPfS1_jEEvDpT3_,comdat
.Lfunc_end11:
	.size	_Z6kernelI13subtract_leftLj256ELj32ELb0EJPfS1_jEEvDpT3_, .Lfunc_end11-_Z6kernelI13subtract_leftLj256ELj32ELb0EJPfS1_jEEvDpT3_
                                        ; -- End function
	.section	.AMDGPU.csdata,"",@progbits
; Kernel info:
; codeLenInByte = 1264
; NumSgprs: 12
; NumVgprs: 62
; NumAgprs: 0
; TotalNumVgprs: 62
; ScratchSize: 0
; MemoryBound: 0
; FloatMode: 240
; IeeeMode: 1
; LDSByteSize: 2048 bytes/workgroup (compile time only)
; SGPRBlocks: 1
; VGPRBlocks: 7
; NumSGPRsForWavesPerEU: 12
; NumVGPRsForWavesPerEU: 62
; AccumOffset: 64
; Occupancy: 8
; WaveLimiterHint : 1
; COMPUTE_PGM_RSRC2:SCRATCH_EN: 0
; COMPUTE_PGM_RSRC2:USER_SGPR: 6
; COMPUTE_PGM_RSRC2:TRAP_HANDLER: 0
; COMPUTE_PGM_RSRC2:TGID_X_EN: 1
; COMPUTE_PGM_RSRC2:TGID_Y_EN: 0
; COMPUTE_PGM_RSRC2:TGID_Z_EN: 0
; COMPUTE_PGM_RSRC2:TIDIG_COMP_CNT: 0
; COMPUTE_PGM_RSRC3_GFX90A:ACCUM_OFFSET: 15
; COMPUTE_PGM_RSRC3_GFX90A:TG_SPLIT: 0
	.section	.text._Z6kernelI13subtract_leftLj256ELj1ELb0EJPaS1_jEEvDpT3_,"axG",@progbits,_Z6kernelI13subtract_leftLj256ELj1ELb0EJPaS1_jEEvDpT3_,comdat
	.protected	_Z6kernelI13subtract_leftLj256ELj1ELb0EJPaS1_jEEvDpT3_ ; -- Begin function _Z6kernelI13subtract_leftLj256ELj1ELb0EJPaS1_jEEvDpT3_
	.globl	_Z6kernelI13subtract_leftLj256ELj1ELb0EJPaS1_jEEvDpT3_
	.p2align	8
	.type	_Z6kernelI13subtract_leftLj256ELj1ELb0EJPaS1_jEEvDpT3_,@function
_Z6kernelI13subtract_leftLj256ELj1ELb0EJPaS1_jEEvDpT3_: ; @_Z6kernelI13subtract_leftLj256ELj1ELb0EJPaS1_jEEvDpT3_
; %bb.0:
	s_load_dwordx4 s[0:3], s[4:5], 0x0
	s_load_dword s7, s[4:5], 0x10
	s_lshl_b32 s4, s6, 8
	s_waitcnt lgkmcnt(0)
	s_add_u32 s0, s0, s4
	s_addc_u32 s1, s1, 0
	global_load_ubyte v1, v0, s[0:1]
	s_cmp_eq_u32 s7, 0
	s_cbranch_scc1 .LBB12_5
; %bb.1:
	v_cmp_ne_u32_e32 vcc, 0, v0
	v_add_u32_e32 v2, -1, v0
	s_branch .LBB12_3
.LBB12_2:                               ;   in Loop: Header=BB12_3 Depth=1
	s_or_b64 exec, exec, s[0:1]
	s_add_i32 s7, s7, -1
	v_add_u16_e32 v1, v3, v1
	s_cmp_lg_u32 s7, 0
	s_barrier
	s_cbranch_scc0 .LBB12_5
.LBB12_3:                               ; =>This Inner Loop Header: Depth=1
	s_waitcnt vmcnt(0)
	v_mov_b32_e32 v3, v1
	ds_write_b8 v0, v1
	s_waitcnt lgkmcnt(0)
	s_barrier
	s_and_saveexec_b64 s[0:1], vcc
	s_cbranch_execz .LBB12_2
; %bb.4:                                ;   in Loop: Header=BB12_3 Depth=1
	ds_read_u8 v3, v2
	s_waitcnt lgkmcnt(0)
	v_sub_u16_e32 v3, v1, v3
	s_branch .LBB12_2
.LBB12_5:
	s_add_u32 s0, s2, s4
	s_addc_u32 s1, s3, 0
	v_mov_b32_e32 v3, s1
	v_add_co_u32_e32 v2, vcc, s0, v0
	v_addc_co_u32_e32 v3, vcc, 0, v3, vcc
	s_waitcnt vmcnt(0)
	global_store_byte v[2:3], v1, off
	s_endpgm
	.section	.rodata,"a",@progbits
	.p2align	6, 0x0
	.amdhsa_kernel _Z6kernelI13subtract_leftLj256ELj1ELb0EJPaS1_jEEvDpT3_
		.amdhsa_group_segment_fixed_size 512
		.amdhsa_private_segment_fixed_size 0
		.amdhsa_kernarg_size 20
		.amdhsa_user_sgpr_count 6
		.amdhsa_user_sgpr_private_segment_buffer 1
		.amdhsa_user_sgpr_dispatch_ptr 0
		.amdhsa_user_sgpr_queue_ptr 0
		.amdhsa_user_sgpr_kernarg_segment_ptr 1
		.amdhsa_user_sgpr_dispatch_id 0
		.amdhsa_user_sgpr_flat_scratch_init 0
		.amdhsa_user_sgpr_kernarg_preload_length 0
		.amdhsa_user_sgpr_kernarg_preload_offset 0
		.amdhsa_user_sgpr_private_segment_size 0
		.amdhsa_uses_dynamic_stack 0
		.amdhsa_system_sgpr_private_segment_wavefront_offset 0
		.amdhsa_system_sgpr_workgroup_id_x 1
		.amdhsa_system_sgpr_workgroup_id_y 0
		.amdhsa_system_sgpr_workgroup_id_z 0
		.amdhsa_system_sgpr_workgroup_info 0
		.amdhsa_system_vgpr_workitem_id 0
		.amdhsa_next_free_vgpr 4
		.amdhsa_next_free_sgpr 8
		.amdhsa_accum_offset 4
		.amdhsa_reserve_vcc 1
		.amdhsa_reserve_flat_scratch 0
		.amdhsa_float_round_mode_32 0
		.amdhsa_float_round_mode_16_64 0
		.amdhsa_float_denorm_mode_32 3
		.amdhsa_float_denorm_mode_16_64 3
		.amdhsa_dx10_clamp 1
		.amdhsa_ieee_mode 1
		.amdhsa_fp16_overflow 0
		.amdhsa_tg_split 0
		.amdhsa_exception_fp_ieee_invalid_op 0
		.amdhsa_exception_fp_denorm_src 0
		.amdhsa_exception_fp_ieee_div_zero 0
		.amdhsa_exception_fp_ieee_overflow 0
		.amdhsa_exception_fp_ieee_underflow 0
		.amdhsa_exception_fp_ieee_inexact 0
		.amdhsa_exception_int_div_zero 0
	.end_amdhsa_kernel
	.section	.text._Z6kernelI13subtract_leftLj256ELj1ELb0EJPaS1_jEEvDpT3_,"axG",@progbits,_Z6kernelI13subtract_leftLj256ELj1ELb0EJPaS1_jEEvDpT3_,comdat
.Lfunc_end12:
	.size	_Z6kernelI13subtract_leftLj256ELj1ELb0EJPaS1_jEEvDpT3_, .Lfunc_end12-_Z6kernelI13subtract_leftLj256ELj1ELb0EJPaS1_jEEvDpT3_
                                        ; -- End function
	.section	.AMDGPU.csdata,"",@progbits
; Kernel info:
; codeLenInByte = 172
; NumSgprs: 12
; NumVgprs: 4
; NumAgprs: 0
; TotalNumVgprs: 4
; ScratchSize: 0
; MemoryBound: 0
; FloatMode: 240
; IeeeMode: 1
; LDSByteSize: 512 bytes/workgroup (compile time only)
; SGPRBlocks: 1
; VGPRBlocks: 0
; NumSGPRsForWavesPerEU: 12
; NumVGPRsForWavesPerEU: 4
; AccumOffset: 4
; Occupancy: 8
; WaveLimiterHint : 0
; COMPUTE_PGM_RSRC2:SCRATCH_EN: 0
; COMPUTE_PGM_RSRC2:USER_SGPR: 6
; COMPUTE_PGM_RSRC2:TRAP_HANDLER: 0
; COMPUTE_PGM_RSRC2:TGID_X_EN: 1
; COMPUTE_PGM_RSRC2:TGID_Y_EN: 0
; COMPUTE_PGM_RSRC2:TGID_Z_EN: 0
; COMPUTE_PGM_RSRC2:TIDIG_COMP_CNT: 0
; COMPUTE_PGM_RSRC3_GFX90A:ACCUM_OFFSET: 0
; COMPUTE_PGM_RSRC3_GFX90A:TG_SPLIT: 0
	.section	.text._Z6kernelI13subtract_leftLj256ELj3ELb0EJPaS1_jEEvDpT3_,"axG",@progbits,_Z6kernelI13subtract_leftLj256ELj3ELb0EJPaS1_jEEvDpT3_,comdat
	.protected	_Z6kernelI13subtract_leftLj256ELj3ELb0EJPaS1_jEEvDpT3_ ; -- Begin function _Z6kernelI13subtract_leftLj256ELj3ELb0EJPaS1_jEEvDpT3_
	.globl	_Z6kernelI13subtract_leftLj256ELj3ELb0EJPaS1_jEEvDpT3_
	.p2align	8
	.type	_Z6kernelI13subtract_leftLj256ELj3ELb0EJPaS1_jEEvDpT3_,@function
_Z6kernelI13subtract_leftLj256ELj3ELb0EJPaS1_jEEvDpT3_: ; @_Z6kernelI13subtract_leftLj256ELj3ELb0EJPaS1_jEEvDpT3_
; %bb.0:
	s_load_dwordx4 s[0:3], s[4:5], 0x0
	s_load_dword s7, s[4:5], 0x10
	s_mul_i32 s4, s6, 0x300
	s_waitcnt lgkmcnt(0)
	s_add_u32 s0, s0, s4
	s_addc_u32 s1, s1, 0
	global_load_ubyte v1, v0, s[0:1] offset:256
	global_load_ubyte v2, v0, s[0:1]
	global_load_ubyte v3, v0, s[0:1] offset:512
	s_cmp_eq_u32 s7, 0
	s_waitcnt vmcnt(2)
	v_lshlrev_b16_e32 v1, 8, v1
	s_waitcnt vmcnt(1)
	v_or_b32_e32 v1, v2, v1
	v_and_b32_e32 v1, 0xffff, v1
	s_waitcnt vmcnt(0)
	v_lshl_or_b32 v1, v3, 16, v1
	s_cbranch_scc1 .LBB13_5
; %bb.1:
	v_cmp_ne_u32_e32 vcc, 0, v0
	v_add_u32_e32 v2, -1, v0
	s_mov_b32 s5, 0x3020104
	s_branch .LBB13_3
.LBB13_2:                               ;   in Loop: Header=BB13_3 Depth=1
	s_or_b64 exec, exec, s[0:1]
	v_lshrrev_b32_e32 v6, 8, v5
	v_add_u16_sdwa v3, v5, v3 dst_sel:DWORD dst_unused:UNUSED_PAD src0_sel:WORD_1 src1_sel:DWORD
	v_add_u16_e32 v1, v5, v1
	v_add_u16_sdwa v4, v6, v4 dst_sel:BYTE_1 dst_unused:UNUSED_PAD src0_sel:DWORD src1_sel:DWORD
	v_and_b32_e32 v3, 0xff, v3
	v_or_b32_sdwa v1, v1, v4 dst_sel:DWORD dst_unused:UNUSED_PAD src0_sel:BYTE_0 src1_sel:DWORD
	v_lshlrev_b32_e32 v3, 16, v3
	s_add_i32 s7, s7, -1
	v_or_b32_sdwa v1, v1, v3 dst_sel:DWORD dst_unused:UNUSED_PAD src0_sel:WORD_0 src1_sel:DWORD
	s_cmp_lg_u32 s7, 0
	s_barrier
	s_cbranch_scc0 .LBB13_5
.LBB13_3:                               ; =>This Inner Loop Header: Depth=1
	v_lshrrev_b32_e32 v3, 16, v1
	v_lshrrev_b32_e32 v4, 8, v1
	v_sub_u16_e32 v5, v3, v4
	v_sub_u16_sdwa v6, v4, v1 dst_sel:BYTE_1 dst_unused:UNUSED_PAD src0_sel:DWORD src1_sel:DWORD
	v_and_b32_e32 v5, 0xff, v5
	v_or_b32_sdwa v6, v1, v6 dst_sel:DWORD dst_unused:UNUSED_PAD src0_sel:BYTE_0 src1_sel:DWORD
	v_lshlrev_b32_e32 v5, 16, v5
	v_or_b32_sdwa v5, v6, v5 dst_sel:DWORD dst_unused:UNUSED_PAD src0_sel:WORD_0 src1_sel:DWORD
	ds_write_b8 v0, v3
	s_waitcnt lgkmcnt(0)
	s_barrier
	s_and_saveexec_b64 s[0:1], vcc
	s_cbranch_execz .LBB13_2
; %bb.4:                                ;   in Loop: Header=BB13_3 Depth=1
	ds_read_u8 v6, v2
	s_waitcnt lgkmcnt(0)
	v_sub_u16_e32 v6, v1, v6
	v_perm_b32 v5, v6, v5, s5
	s_branch .LBB13_2
.LBB13_5:
	s_add_u32 s0, s2, s4
	s_addc_u32 s1, s3, 0
	v_mov_b32_e32 v3, s1
	v_add_co_u32_e32 v2, vcc, s0, v0
	v_addc_co_u32_e32 v3, vcc, 0, v3, vcc
	v_lshrrev_b32_e32 v0, 8, v1
	global_store_byte v[2:3], v1, off
	global_store_byte v[2:3], v0, off offset:256
	global_store_byte_d16_hi v[2:3], v1, off offset:512
	s_endpgm
	.section	.rodata,"a",@progbits
	.p2align	6, 0x0
	.amdhsa_kernel _Z6kernelI13subtract_leftLj256ELj3ELb0EJPaS1_jEEvDpT3_
		.amdhsa_group_segment_fixed_size 512
		.amdhsa_private_segment_fixed_size 0
		.amdhsa_kernarg_size 20
		.amdhsa_user_sgpr_count 6
		.amdhsa_user_sgpr_private_segment_buffer 1
		.amdhsa_user_sgpr_dispatch_ptr 0
		.amdhsa_user_sgpr_queue_ptr 0
		.amdhsa_user_sgpr_kernarg_segment_ptr 1
		.amdhsa_user_sgpr_dispatch_id 0
		.amdhsa_user_sgpr_flat_scratch_init 0
		.amdhsa_user_sgpr_kernarg_preload_length 0
		.amdhsa_user_sgpr_kernarg_preload_offset 0
		.amdhsa_user_sgpr_private_segment_size 0
		.amdhsa_uses_dynamic_stack 0
		.amdhsa_system_sgpr_private_segment_wavefront_offset 0
		.amdhsa_system_sgpr_workgroup_id_x 1
		.amdhsa_system_sgpr_workgroup_id_y 0
		.amdhsa_system_sgpr_workgroup_id_z 0
		.amdhsa_system_sgpr_workgroup_info 0
		.amdhsa_system_vgpr_workitem_id 0
		.amdhsa_next_free_vgpr 7
		.amdhsa_next_free_sgpr 8
		.amdhsa_accum_offset 8
		.amdhsa_reserve_vcc 1
		.amdhsa_reserve_flat_scratch 0
		.amdhsa_float_round_mode_32 0
		.amdhsa_float_round_mode_16_64 0
		.amdhsa_float_denorm_mode_32 3
		.amdhsa_float_denorm_mode_16_64 3
		.amdhsa_dx10_clamp 1
		.amdhsa_ieee_mode 1
		.amdhsa_fp16_overflow 0
		.amdhsa_tg_split 0
		.amdhsa_exception_fp_ieee_invalid_op 0
		.amdhsa_exception_fp_denorm_src 0
		.amdhsa_exception_fp_ieee_div_zero 0
		.amdhsa_exception_fp_ieee_overflow 0
		.amdhsa_exception_fp_ieee_underflow 0
		.amdhsa_exception_fp_ieee_inexact 0
		.amdhsa_exception_int_div_zero 0
	.end_amdhsa_kernel
	.section	.text._Z6kernelI13subtract_leftLj256ELj3ELb0EJPaS1_jEEvDpT3_,"axG",@progbits,_Z6kernelI13subtract_leftLj256ELj3ELb0EJPaS1_jEEvDpT3_,comdat
.Lfunc_end13:
	.size	_Z6kernelI13subtract_leftLj256ELj3ELb0EJPaS1_jEEvDpT3_, .Lfunc_end13-_Z6kernelI13subtract_leftLj256ELj3ELb0EJPaS1_jEEvDpT3_
                                        ; -- End function
	.section	.AMDGPU.csdata,"",@progbits
; Kernel info:
; codeLenInByte = 348
; NumSgprs: 12
; NumVgprs: 7
; NumAgprs: 0
; TotalNumVgprs: 7
; ScratchSize: 0
; MemoryBound: 0
; FloatMode: 240
; IeeeMode: 1
; LDSByteSize: 512 bytes/workgroup (compile time only)
; SGPRBlocks: 1
; VGPRBlocks: 0
; NumSGPRsForWavesPerEU: 12
; NumVGPRsForWavesPerEU: 7
; AccumOffset: 8
; Occupancy: 8
; WaveLimiterHint : 1
; COMPUTE_PGM_RSRC2:SCRATCH_EN: 0
; COMPUTE_PGM_RSRC2:USER_SGPR: 6
; COMPUTE_PGM_RSRC2:TRAP_HANDLER: 0
; COMPUTE_PGM_RSRC2:TGID_X_EN: 1
; COMPUTE_PGM_RSRC2:TGID_Y_EN: 0
; COMPUTE_PGM_RSRC2:TGID_Z_EN: 0
; COMPUTE_PGM_RSRC2:TIDIG_COMP_CNT: 0
; COMPUTE_PGM_RSRC3_GFX90A:ACCUM_OFFSET: 1
; COMPUTE_PGM_RSRC3_GFX90A:TG_SPLIT: 0
	.section	.text._Z6kernelI13subtract_leftLj256ELj4ELb0EJPaS1_jEEvDpT3_,"axG",@progbits,_Z6kernelI13subtract_leftLj256ELj4ELb0EJPaS1_jEEvDpT3_,comdat
	.protected	_Z6kernelI13subtract_leftLj256ELj4ELb0EJPaS1_jEEvDpT3_ ; -- Begin function _Z6kernelI13subtract_leftLj256ELj4ELb0EJPaS1_jEEvDpT3_
	.globl	_Z6kernelI13subtract_leftLj256ELj4ELb0EJPaS1_jEEvDpT3_
	.p2align	8
	.type	_Z6kernelI13subtract_leftLj256ELj4ELb0EJPaS1_jEEvDpT3_,@function
_Z6kernelI13subtract_leftLj256ELj4ELb0EJPaS1_jEEvDpT3_: ; @_Z6kernelI13subtract_leftLj256ELj4ELb0EJPaS1_jEEvDpT3_
; %bb.0:
	s_load_dwordx4 s[0:3], s[4:5], 0x0
	s_load_dword s7, s[4:5], 0x10
	s_lshl_b32 s4, s6, 10
	s_waitcnt lgkmcnt(0)
	s_add_u32 s0, s0, s4
	s_addc_u32 s1, s1, 0
	global_load_ubyte v1, v0, s[0:1] offset:256
	global_load_ubyte v2, v0, s[0:1] offset:768
	global_load_ubyte v3, v0, s[0:1]
	global_load_ubyte v4, v0, s[0:1] offset:512
	s_cmp_eq_u32 s7, 0
	s_waitcnt vmcnt(3)
	v_lshlrev_b16_e32 v1, 8, v1
	s_waitcnt vmcnt(2)
	v_lshlrev_b16_e32 v2, 8, v2
	s_waitcnt vmcnt(1)
	v_or_b32_e32 v1, v3, v1
	s_waitcnt vmcnt(0)
	v_or_b32_sdwa v2, v4, v2 dst_sel:WORD_1 dst_unused:UNUSED_PAD src0_sel:DWORD src1_sel:DWORD
	v_or_b32_sdwa v1, v1, v2 dst_sel:DWORD dst_unused:UNUSED_PAD src0_sel:WORD_0 src1_sel:DWORD
	s_cbranch_scc1 .LBB14_5
; %bb.1:
	v_cmp_ne_u32_e32 vcc, 0, v0
	v_add_u32_e32 v2, -1, v0
	s_mov_b32 s5, 0x3020104
	s_branch .LBB14_3
.LBB14_2:                               ;   in Loop: Header=BB14_3 Depth=1
	s_or_b64 exec, exec, s[0:1]
	v_lshrrev_b32_e32 v6, 16, v5
	v_lshrrev_b32_e32 v8, 8, v5
	v_add_u16_e32 v7, v5, v1
	v_add_u16_sdwa v4, v8, v4 dst_sel:BYTE_1 dst_unused:UNUSED_PAD src0_sel:DWORD src1_sel:DWORD
	v_add_u16_sdwa v1, v6, v1 dst_sel:DWORD dst_unused:UNUSED_PAD src0_sel:DWORD src1_sel:WORD_1
	v_add_u16_sdwa v3, v5, v3 dst_sel:BYTE_1 dst_unused:UNUSED_PAD src0_sel:BYTE_3 src1_sel:DWORD
	v_or_b32_sdwa v4, v7, v4 dst_sel:DWORD dst_unused:UNUSED_PAD src0_sel:BYTE_0 src1_sel:DWORD
	v_or_b32_sdwa v1, v1, v3 dst_sel:WORD_1 dst_unused:UNUSED_PAD src0_sel:BYTE_0 src1_sel:DWORD
	s_add_i32 s7, s7, -1
	v_or_b32_sdwa v1, v4, v1 dst_sel:DWORD dst_unused:UNUSED_PAD src0_sel:WORD_0 src1_sel:DWORD
	s_cmp_lg_u32 s7, 0
	s_barrier
	s_cbranch_scc0 .LBB14_5
.LBB14_3:                               ; =>This Inner Loop Header: Depth=1
	v_lshrrev_b32_e32 v3, 24, v1
	v_lshrrev_b32_e32 v4, 8, v1
	v_sub_u16_sdwa v5, v3, v1 dst_sel:BYTE_1 dst_unused:UNUSED_PAD src0_sel:DWORD src1_sel:WORD_1
	v_sub_u16_sdwa v6, v1, v4 dst_sel:DWORD dst_unused:UNUSED_PAD src0_sel:WORD_1 src1_sel:DWORD
	v_sub_u16_sdwa v7, v4, v1 dst_sel:BYTE_1 dst_unused:UNUSED_PAD src0_sel:DWORD src1_sel:DWORD
	v_or_b32_sdwa v7, v1, v7 dst_sel:DWORD dst_unused:UNUSED_PAD src0_sel:BYTE_0 src1_sel:DWORD
	v_or_b32_sdwa v5, v6, v5 dst_sel:WORD_1 dst_unused:UNUSED_PAD src0_sel:BYTE_0 src1_sel:DWORD
	v_or_b32_sdwa v5, v7, v5 dst_sel:DWORD dst_unused:UNUSED_PAD src0_sel:WORD_0 src1_sel:DWORD
	ds_write_b8 v0, v3
	s_waitcnt lgkmcnt(0)
	s_barrier
	s_and_saveexec_b64 s[0:1], vcc
	s_cbranch_execz .LBB14_2
; %bb.4:                                ;   in Loop: Header=BB14_3 Depth=1
	ds_read_u8 v6, v2
	s_waitcnt lgkmcnt(0)
	v_sub_u16_e32 v6, v1, v6
	v_perm_b32 v5, v6, v5, s5
	s_branch .LBB14_2
.LBB14_5:
	s_add_u32 s0, s2, s4
	s_addc_u32 s1, s3, 0
	v_mov_b32_e32 v3, s1
	v_add_co_u32_e32 v2, vcc, s0, v0
	v_addc_co_u32_e32 v3, vcc, 0, v3, vcc
	v_lshrrev_b32_e32 v0, 8, v1
	global_store_byte v[2:3], v1, off
	global_store_byte v[2:3], v0, off offset:256
	global_store_byte_d16_hi v[2:3], v1, off offset:512
	v_lshrrev_b32_e32 v0, 24, v1
	global_store_byte v[2:3], v0, off offset:768
	s_endpgm
	.section	.rodata,"a",@progbits
	.p2align	6, 0x0
	.amdhsa_kernel _Z6kernelI13subtract_leftLj256ELj4ELb0EJPaS1_jEEvDpT3_
		.amdhsa_group_segment_fixed_size 512
		.amdhsa_private_segment_fixed_size 0
		.amdhsa_kernarg_size 20
		.amdhsa_user_sgpr_count 6
		.amdhsa_user_sgpr_private_segment_buffer 1
		.amdhsa_user_sgpr_dispatch_ptr 0
		.amdhsa_user_sgpr_queue_ptr 0
		.amdhsa_user_sgpr_kernarg_segment_ptr 1
		.amdhsa_user_sgpr_dispatch_id 0
		.amdhsa_user_sgpr_flat_scratch_init 0
		.amdhsa_user_sgpr_kernarg_preload_length 0
		.amdhsa_user_sgpr_kernarg_preload_offset 0
		.amdhsa_user_sgpr_private_segment_size 0
		.amdhsa_uses_dynamic_stack 0
		.amdhsa_system_sgpr_private_segment_wavefront_offset 0
		.amdhsa_system_sgpr_workgroup_id_x 1
		.amdhsa_system_sgpr_workgroup_id_y 0
		.amdhsa_system_sgpr_workgroup_id_z 0
		.amdhsa_system_sgpr_workgroup_info 0
		.amdhsa_system_vgpr_workitem_id 0
		.amdhsa_next_free_vgpr 9
		.amdhsa_next_free_sgpr 8
		.amdhsa_accum_offset 12
		.amdhsa_reserve_vcc 1
		.amdhsa_reserve_flat_scratch 0
		.amdhsa_float_round_mode_32 0
		.amdhsa_float_round_mode_16_64 0
		.amdhsa_float_denorm_mode_32 3
		.amdhsa_float_denorm_mode_16_64 3
		.amdhsa_dx10_clamp 1
		.amdhsa_ieee_mode 1
		.amdhsa_fp16_overflow 0
		.amdhsa_tg_split 0
		.amdhsa_exception_fp_ieee_invalid_op 0
		.amdhsa_exception_fp_denorm_src 0
		.amdhsa_exception_fp_ieee_div_zero 0
		.amdhsa_exception_fp_ieee_overflow 0
		.amdhsa_exception_fp_ieee_underflow 0
		.amdhsa_exception_fp_ieee_inexact 0
		.amdhsa_exception_int_div_zero 0
	.end_amdhsa_kernel
	.section	.text._Z6kernelI13subtract_leftLj256ELj4ELb0EJPaS1_jEEvDpT3_,"axG",@progbits,_Z6kernelI13subtract_leftLj256ELj4ELb0EJPaS1_jEEvDpT3_,comdat
.Lfunc_end14:
	.size	_Z6kernelI13subtract_leftLj256ELj4ELb0EJPaS1_jEEvDpT3_, .Lfunc_end14-_Z6kernelI13subtract_leftLj256ELj4ELb0EJPaS1_jEEvDpT3_
                                        ; -- End function
	.section	.AMDGPU.csdata,"",@progbits
; Kernel info:
; codeLenInByte = 388
; NumSgprs: 12
; NumVgprs: 9
; NumAgprs: 0
; TotalNumVgprs: 9
; ScratchSize: 0
; MemoryBound: 0
; FloatMode: 240
; IeeeMode: 1
; LDSByteSize: 512 bytes/workgroup (compile time only)
; SGPRBlocks: 1
; VGPRBlocks: 1
; NumSGPRsForWavesPerEU: 12
; NumVGPRsForWavesPerEU: 9
; AccumOffset: 12
; Occupancy: 8
; WaveLimiterHint : 1
; COMPUTE_PGM_RSRC2:SCRATCH_EN: 0
; COMPUTE_PGM_RSRC2:USER_SGPR: 6
; COMPUTE_PGM_RSRC2:TRAP_HANDLER: 0
; COMPUTE_PGM_RSRC2:TGID_X_EN: 1
; COMPUTE_PGM_RSRC2:TGID_Y_EN: 0
; COMPUTE_PGM_RSRC2:TGID_Z_EN: 0
; COMPUTE_PGM_RSRC2:TIDIG_COMP_CNT: 0
; COMPUTE_PGM_RSRC3_GFX90A:ACCUM_OFFSET: 2
; COMPUTE_PGM_RSRC3_GFX90A:TG_SPLIT: 0
	.section	.text._Z6kernelI13subtract_leftLj256ELj8ELb0EJPaS1_jEEvDpT3_,"axG",@progbits,_Z6kernelI13subtract_leftLj256ELj8ELb0EJPaS1_jEEvDpT3_,comdat
	.protected	_Z6kernelI13subtract_leftLj256ELj8ELb0EJPaS1_jEEvDpT3_ ; -- Begin function _Z6kernelI13subtract_leftLj256ELj8ELb0EJPaS1_jEEvDpT3_
	.globl	_Z6kernelI13subtract_leftLj256ELj8ELb0EJPaS1_jEEvDpT3_
	.p2align	8
	.type	_Z6kernelI13subtract_leftLj256ELj8ELb0EJPaS1_jEEvDpT3_,@function
_Z6kernelI13subtract_leftLj256ELj8ELb0EJPaS1_jEEvDpT3_: ; @_Z6kernelI13subtract_leftLj256ELj8ELb0EJPaS1_jEEvDpT3_
; %bb.0:
	s_load_dwordx4 s[0:3], s[4:5], 0x0
	s_load_dword s7, s[4:5], 0x10
	s_lshl_b32 s4, s6, 11
	s_waitcnt lgkmcnt(0)
	s_add_u32 s0, s0, s4
	s_addc_u32 s1, s1, 0
	global_load_ubyte v1, v0, s[0:1] offset:256
	global_load_ubyte v2, v0, s[0:1] offset:768
	;; [unrolled: 1-line block ×4, first 2 shown]
	global_load_ubyte v5, v0, s[0:1]
	global_load_ubyte v6, v0, s[0:1] offset:512
	global_load_ubyte v7, v0, s[0:1] offset:1024
	;; [unrolled: 1-line block ×3, first 2 shown]
	s_cmp_eq_u32 s7, 0
	s_waitcnt vmcnt(7)
	v_lshlrev_b16_e32 v1, 8, v1
	s_waitcnt vmcnt(6)
	v_lshlrev_b16_e32 v2, 8, v2
	s_waitcnt vmcnt(5)
	v_lshlrev_b16_e32 v3, 8, v3
	s_waitcnt vmcnt(4)
	v_lshlrev_b16_e32 v4, 8, v4
	s_waitcnt vmcnt(3)
	v_or_b32_e32 v1, v5, v1
	s_waitcnt vmcnt(2)
	v_or_b32_sdwa v2, v6, v2 dst_sel:WORD_1 dst_unused:UNUSED_PAD src0_sel:DWORD src1_sel:DWORD
	s_waitcnt vmcnt(1)
	v_or_b32_e32 v3, v7, v3
	s_waitcnt vmcnt(0)
	v_or_b32_sdwa v4, v8, v4 dst_sel:WORD_1 dst_unused:UNUSED_PAD src0_sel:DWORD src1_sel:DWORD
	v_or_b32_sdwa v2, v1, v2 dst_sel:DWORD dst_unused:UNUSED_PAD src0_sel:WORD_0 src1_sel:DWORD
	v_or_b32_sdwa v3, v3, v4 dst_sel:DWORD dst_unused:UNUSED_PAD src0_sel:WORD_0 src1_sel:DWORD
	s_cbranch_scc1 .LBB15_5
; %bb.1:
	v_cmp_ne_u32_e32 vcc, 0, v0
	v_add_u32_e32 v7, -1, v0
	s_mov_b32 s5, 0x3020104
	s_branch .LBB15_3
.LBB15_2:                               ;   in Loop: Header=BB15_3 Depth=1
	s_or_b64 exec, exec, s[0:1]
	v_lshrrev_b32_e32 v11, 8, v6
	v_add_u16_sdwa v5, v11, v5 dst_sel:BYTE_1 dst_unused:UNUSED_PAD src0_sel:DWORD src1_sel:DWORD
	v_lshrrev_b32_e32 v11, 16, v6
	v_add_u16_e32 v10, v6, v2
	v_add_u16_sdwa v2, v11, v2 dst_sel:DWORD dst_unused:UNUSED_PAD src0_sel:DWORD src1_sel:WORD_1
	v_lshrrev_b32_e32 v11, 8, v1
	v_add_u16_sdwa v9, v11, v9 dst_sel:BYTE_1 dst_unused:UNUSED_PAD src0_sel:DWORD src1_sel:DWORD
	v_lshrrev_b32_e32 v11, 16, v1
	v_add_u16_sdwa v4, v6, v4 dst_sel:BYTE_1 dst_unused:UNUSED_PAD src0_sel:BYTE_3 src1_sel:DWORD
	v_add_u16_e32 v6, v1, v3
	v_add_u16_sdwa v3, v11, v3 dst_sel:DWORD dst_unused:UNUSED_PAD src0_sel:DWORD src1_sel:WORD_1
	v_add_u16_sdwa v1, v1, v8 dst_sel:BYTE_1 dst_unused:UNUSED_PAD src0_sel:BYTE_3 src1_sel:DWORD
	v_or_b32_sdwa v5, v10, v5 dst_sel:DWORD dst_unused:UNUSED_PAD src0_sel:BYTE_0 src1_sel:DWORD
	v_or_b32_sdwa v2, v2, v4 dst_sel:WORD_1 dst_unused:UNUSED_PAD src0_sel:BYTE_0 src1_sel:DWORD
	v_or_b32_sdwa v4, v6, v9 dst_sel:DWORD dst_unused:UNUSED_PAD src0_sel:BYTE_0 src1_sel:DWORD
	v_or_b32_sdwa v1, v3, v1 dst_sel:WORD_1 dst_unused:UNUSED_PAD src0_sel:BYTE_0 src1_sel:DWORD
	s_add_i32 s7, s7, -1
	v_or_b32_sdwa v2, v5, v2 dst_sel:DWORD dst_unused:UNUSED_PAD src0_sel:WORD_0 src1_sel:DWORD
	s_cmp_lg_u32 s7, 0
	v_or_b32_sdwa v3, v4, v1 dst_sel:DWORD dst_unused:UNUSED_PAD src0_sel:WORD_0 src1_sel:DWORD
	s_barrier
	s_cbranch_scc0 .LBB15_5
.LBB15_3:                               ; =>This Inner Loop Header: Depth=1
	v_lshrrev_b64 v[4:5], 24, v[2:3]
	v_lshrrev_b32_e32 v9, 8, v3
	v_lshrrev_b32_e32 v8, 24, v3
	;; [unrolled: 1-line block ×3, first 2 shown]
	v_sub_u16_sdwa v1, v8, v3 dst_sel:BYTE_1 dst_unused:UNUSED_PAD src0_sel:DWORD src1_sel:WORD_1
	v_sub_u16_sdwa v10, v3, v9 dst_sel:DWORD dst_unused:UNUSED_PAD src0_sel:WORD_1 src1_sel:DWORD
	v_sub_u16_sdwa v11, v9, v3 dst_sel:BYTE_1 dst_unused:UNUSED_PAD src0_sel:DWORD src1_sel:DWORD
	v_sub_u16_e32 v12, v3, v4
	v_sub_u16_sdwa v6, v4, v2 dst_sel:BYTE_1 dst_unused:UNUSED_PAD src0_sel:DWORD src1_sel:WORD_1
	v_sub_u16_sdwa v13, v2, v5 dst_sel:DWORD dst_unused:UNUSED_PAD src0_sel:WORD_1 src1_sel:DWORD
	v_sub_u16_sdwa v14, v5, v2 dst_sel:BYTE_1 dst_unused:UNUSED_PAD src0_sel:DWORD src1_sel:DWORD
	v_or_b32_sdwa v14, v2, v14 dst_sel:DWORD dst_unused:UNUSED_PAD src0_sel:BYTE_0 src1_sel:DWORD
	v_or_b32_sdwa v6, v13, v6 dst_sel:WORD_1 dst_unused:UNUSED_PAD src0_sel:BYTE_0 src1_sel:DWORD
	v_or_b32_sdwa v11, v12, v11 dst_sel:DWORD dst_unused:UNUSED_PAD src0_sel:BYTE_0 src1_sel:DWORD
	v_or_b32_sdwa v1, v10, v1 dst_sel:WORD_1 dst_unused:UNUSED_PAD src0_sel:BYTE_0 src1_sel:DWORD
	v_or_b32_sdwa v6, v14, v6 dst_sel:DWORD dst_unused:UNUSED_PAD src0_sel:WORD_0 src1_sel:DWORD
	v_or_b32_sdwa v1, v11, v1 dst_sel:DWORD dst_unused:UNUSED_PAD src0_sel:WORD_0 src1_sel:DWORD
	ds_write_b8 v0, v8
	s_waitcnt lgkmcnt(0)
	s_barrier
	s_and_saveexec_b64 s[0:1], vcc
	s_cbranch_execz .LBB15_2
; %bb.4:                                ;   in Loop: Header=BB15_3 Depth=1
	ds_read_u8 v10, v7
	s_waitcnt lgkmcnt(0)
	v_sub_u16_e32 v10, v2, v10
	v_perm_b32 v6, v10, v6, s5
	s_branch .LBB15_2
.LBB15_5:
	s_add_u32 s0, s2, s4
	s_addc_u32 s1, s3, 0
	v_mov_b32_e32 v1, s1
	v_add_co_u32_e32 v0, vcc, s0, v0
	v_addc_co_u32_e32 v1, vcc, 0, v1, vcc
	v_lshrrev_b32_e32 v4, 8, v2
	global_store_byte v[0:1], v2, off
	global_store_byte v[0:1], v4, off offset:256
	global_store_byte_d16_hi v[0:1], v2, off offset:512
	v_lshrrev_b32_e32 v2, 24, v2
	global_store_byte v[0:1], v2, off offset:768
	global_store_byte v[0:1], v3, off offset:1024
	v_lshrrev_b32_e32 v2, 8, v3
	global_store_byte v[0:1], v2, off offset:1280
	global_store_byte_d16_hi v[0:1], v3, off offset:1536
	v_lshrrev_b32_e32 v2, 24, v3
	global_store_byte v[0:1], v2, off offset:1792
	s_endpgm
	.section	.rodata,"a",@progbits
	.p2align	6, 0x0
	.amdhsa_kernel _Z6kernelI13subtract_leftLj256ELj8ELb0EJPaS1_jEEvDpT3_
		.amdhsa_group_segment_fixed_size 512
		.amdhsa_private_segment_fixed_size 0
		.amdhsa_kernarg_size 20
		.amdhsa_user_sgpr_count 6
		.amdhsa_user_sgpr_private_segment_buffer 1
		.amdhsa_user_sgpr_dispatch_ptr 0
		.amdhsa_user_sgpr_queue_ptr 0
		.amdhsa_user_sgpr_kernarg_segment_ptr 1
		.amdhsa_user_sgpr_dispatch_id 0
		.amdhsa_user_sgpr_flat_scratch_init 0
		.amdhsa_user_sgpr_kernarg_preload_length 0
		.amdhsa_user_sgpr_kernarg_preload_offset 0
		.amdhsa_user_sgpr_private_segment_size 0
		.amdhsa_uses_dynamic_stack 0
		.amdhsa_system_sgpr_private_segment_wavefront_offset 0
		.amdhsa_system_sgpr_workgroup_id_x 1
		.amdhsa_system_sgpr_workgroup_id_y 0
		.amdhsa_system_sgpr_workgroup_id_z 0
		.amdhsa_system_sgpr_workgroup_info 0
		.amdhsa_system_vgpr_workitem_id 0
		.amdhsa_next_free_vgpr 15
		.amdhsa_next_free_sgpr 8
		.amdhsa_accum_offset 16
		.amdhsa_reserve_vcc 1
		.amdhsa_reserve_flat_scratch 0
		.amdhsa_float_round_mode_32 0
		.amdhsa_float_round_mode_16_64 0
		.amdhsa_float_denorm_mode_32 3
		.amdhsa_float_denorm_mode_16_64 3
		.amdhsa_dx10_clamp 1
		.amdhsa_ieee_mode 1
		.amdhsa_fp16_overflow 0
		.amdhsa_tg_split 0
		.amdhsa_exception_fp_ieee_invalid_op 0
		.amdhsa_exception_fp_denorm_src 0
		.amdhsa_exception_fp_ieee_div_zero 0
		.amdhsa_exception_fp_ieee_overflow 0
		.amdhsa_exception_fp_ieee_underflow 0
		.amdhsa_exception_fp_ieee_inexact 0
		.amdhsa_exception_int_div_zero 0
	.end_amdhsa_kernel
	.section	.text._Z6kernelI13subtract_leftLj256ELj8ELb0EJPaS1_jEEvDpT3_,"axG",@progbits,_Z6kernelI13subtract_leftLj256ELj8ELb0EJPaS1_jEEvDpT3_,comdat
.Lfunc_end15:
	.size	_Z6kernelI13subtract_leftLj256ELj8ELb0EJPaS1_jEEvDpT3_, .Lfunc_end15-_Z6kernelI13subtract_leftLj256ELj8ELb0EJPaS1_jEEvDpT3_
                                        ; -- End function
	.section	.AMDGPU.csdata,"",@progbits
; Kernel info:
; codeLenInByte = 628
; NumSgprs: 12
; NumVgprs: 15
; NumAgprs: 0
; TotalNumVgprs: 15
; ScratchSize: 0
; MemoryBound: 0
; FloatMode: 240
; IeeeMode: 1
; LDSByteSize: 512 bytes/workgroup (compile time only)
; SGPRBlocks: 1
; VGPRBlocks: 1
; NumSGPRsForWavesPerEU: 12
; NumVGPRsForWavesPerEU: 15
; AccumOffset: 16
; Occupancy: 8
; WaveLimiterHint : 1
; COMPUTE_PGM_RSRC2:SCRATCH_EN: 0
; COMPUTE_PGM_RSRC2:USER_SGPR: 6
; COMPUTE_PGM_RSRC2:TRAP_HANDLER: 0
; COMPUTE_PGM_RSRC2:TGID_X_EN: 1
; COMPUTE_PGM_RSRC2:TGID_Y_EN: 0
; COMPUTE_PGM_RSRC2:TGID_Z_EN: 0
; COMPUTE_PGM_RSRC2:TIDIG_COMP_CNT: 0
; COMPUTE_PGM_RSRC3_GFX90A:ACCUM_OFFSET: 3
; COMPUTE_PGM_RSRC3_GFX90A:TG_SPLIT: 0
	.section	.text._Z6kernelI13subtract_leftLj256ELj16ELb0EJPaS1_jEEvDpT3_,"axG",@progbits,_Z6kernelI13subtract_leftLj256ELj16ELb0EJPaS1_jEEvDpT3_,comdat
	.protected	_Z6kernelI13subtract_leftLj256ELj16ELb0EJPaS1_jEEvDpT3_ ; -- Begin function _Z6kernelI13subtract_leftLj256ELj16ELb0EJPaS1_jEEvDpT3_
	.globl	_Z6kernelI13subtract_leftLj256ELj16ELb0EJPaS1_jEEvDpT3_
	.p2align	8
	.type	_Z6kernelI13subtract_leftLj256ELj16ELb0EJPaS1_jEEvDpT3_,@function
_Z6kernelI13subtract_leftLj256ELj16ELb0EJPaS1_jEEvDpT3_: ; @_Z6kernelI13subtract_leftLj256ELj16ELb0EJPaS1_jEEvDpT3_
; %bb.0:
	s_load_dwordx4 s[0:3], s[4:5], 0x0
	s_load_dword s7, s[4:5], 0x10
	s_lshl_b32 s4, s6, 12
	s_waitcnt lgkmcnt(0)
	s_add_u32 s0, s0, s4
	s_addc_u32 s1, s1, 0
	global_load_ubyte v1, v0, s[0:1] offset:256
	global_load_ubyte v2, v0, s[0:1] offset:768
	;; [unrolled: 1-line block ×8, first 2 shown]
	global_load_ubyte v9, v0, s[0:1]
	global_load_ubyte v10, v0, s[0:1] offset:512
	global_load_ubyte v11, v0, s[0:1] offset:1024
	;; [unrolled: 1-line block ×7, first 2 shown]
	s_cmp_eq_u32 s7, 0
	s_waitcnt vmcnt(15)
	v_lshlrev_b16_e32 v1, 8, v1
	s_waitcnt vmcnt(14)
	v_lshlrev_b16_e32 v2, 8, v2
	;; [unrolled: 2-line block ×8, first 2 shown]
	s_waitcnt vmcnt(7)
	v_or_b32_e32 v1, v9, v1
	s_waitcnt vmcnt(6)
	v_or_b32_sdwa v2, v10, v2 dst_sel:WORD_1 dst_unused:UNUSED_PAD src0_sel:DWORD src1_sel:DWORD
	s_waitcnt vmcnt(5)
	v_or_b32_e32 v3, v11, v3
	s_waitcnt vmcnt(4)
	v_or_b32_sdwa v9, v12, v4 dst_sel:WORD_1 dst_unused:UNUSED_PAD src0_sel:DWORD src1_sel:DWORD
	;; [unrolled: 4-line block ×4, first 2 shown]
	v_or_b32_sdwa v4, v1, v2 dst_sel:DWORD dst_unused:UNUSED_PAD src0_sel:WORD_0 src1_sel:DWORD
	v_or_b32_sdwa v5, v3, v9 dst_sel:DWORD dst_unused:UNUSED_PAD src0_sel:WORD_0 src1_sel:DWORD
	;; [unrolled: 1-line block ×4, first 2 shown]
	s_cbranch_scc1 .LBB16_5
; %bb.1:
	v_cmp_ne_u32_e32 vcc, 0, v0
	v_add_u32_e32 v1, -1, v0
	s_mov_b32 s5, 0x3020104
	s_branch .LBB16_3
.LBB16_2:                               ;   in Loop: Header=BB16_3 Depth=1
	s_or_b64 exec, exec, s[0:1]
	v_lshrrev_b32_e32 v17, 16, v16
	v_lshrrev_b32_e32 v18, 16, v15
	v_add_u16_e32 v21, v16, v4
	v_add_u16_sdwa v4, v17, v4 dst_sel:DWORD dst_unused:UNUSED_PAD src0_sel:DWORD src1_sel:WORD_1
	v_lshrrev_b32_e32 v17, 8, v15
	v_lshrrev_b32_e32 v22, 8, v16
	v_add_u16_sdwa v8, v16, v8 dst_sel:BYTE_1 dst_unused:UNUSED_PAD src0_sel:BYTE_3 src1_sel:DWORD
	v_add_u16_e32 v16, v15, v5
	v_add_u16_sdwa v12, v17, v12 dst_sel:BYTE_1 dst_unused:UNUSED_PAD src0_sel:DWORD src1_sel:DWORD
	v_add_u16_sdwa v17, v18, v5 dst_sel:DWORD dst_unused:UNUSED_PAD src0_sel:DWORD src1_sel:WORD_1
	v_lshrrev_b32_e32 v15, 24, v15
	v_lshrrev_b32_e32 v18, 8, v14
	;; [unrolled: 1-line block ×4, first 2 shown]
	v_add_u16_sdwa v5, v15, v5 dst_sel:DWORD dst_unused:UNUSED_PAD src0_sel:DWORD src1_sel:BYTE_3
	v_add_u16_sdwa v7, v18, v7 dst_sel:BYTE_1 dst_unused:UNUSED_PAD src0_sel:DWORD src1_sel:DWORD
	v_lshrrev_b32_e32 v18, 8, v9
	v_add_u16_sdwa v13, v22, v13 dst_sel:BYTE_1 dst_unused:UNUSED_PAD src0_sel:DWORD src1_sel:DWORD
	v_add_u16_e32 v15, v14, v2
	v_add_u16_sdwa v2, v19, v2 dst_sel:DWORD dst_unused:UNUSED_PAD src0_sel:DWORD src1_sel:WORD_1
	v_add_u16_sdwa v6, v14, v6 dst_sel:BYTE_1 dst_unused:UNUSED_PAD src0_sel:BYTE_3 src1_sel:DWORD
	v_add_u16_e32 v14, v9, v3
	v_add_u16_sdwa v11, v18, v11 dst_sel:BYTE_1 dst_unused:UNUSED_PAD src0_sel:DWORD src1_sel:DWORD
	v_add_u16_sdwa v3, v20, v3 dst_sel:DWORD dst_unused:UNUSED_PAD src0_sel:DWORD src1_sel:WORD_1
	v_add_u16_sdwa v9, v9, v10 dst_sel:BYTE_1 dst_unused:UNUSED_PAD src0_sel:BYTE_3 src1_sel:DWORD
	v_lshlrev_b16_e32 v5, 8, v5
	v_or_b32_sdwa v10, v21, v13 dst_sel:DWORD dst_unused:UNUSED_PAD src0_sel:BYTE_0 src1_sel:DWORD
	v_or_b32_sdwa v4, v4, v8 dst_sel:WORD_1 dst_unused:UNUSED_PAD src0_sel:BYTE_0 src1_sel:DWORD
	v_or_b32_sdwa v8, v16, v12 dst_sel:DWORD dst_unused:UNUSED_PAD src0_sel:BYTE_0 src1_sel:DWORD
	v_or_b32_sdwa v5, v17, v5 dst_sel:WORD_1 dst_unused:UNUSED_PAD src0_sel:BYTE_0 src1_sel:DWORD
	;; [unrolled: 2-line block ×4, first 2 shown]
	s_add_i32 s7, s7, -1
	v_or_b32_sdwa v4, v10, v4 dst_sel:DWORD dst_unused:UNUSED_PAD src0_sel:WORD_0 src1_sel:DWORD
	v_or_b32_sdwa v5, v8, v5 dst_sel:DWORD dst_unused:UNUSED_PAD src0_sel:WORD_0 src1_sel:DWORD
	;; [unrolled: 1-line block ×3, first 2 shown]
	s_cmp_lg_u32 s7, 0
	v_or_b32_sdwa v3, v6, v3 dst_sel:DWORD dst_unused:UNUSED_PAD src0_sel:WORD_0 src1_sel:DWORD
	s_barrier
	s_cbranch_scc0 .LBB16_5
.LBB16_3:                               ; =>This Inner Loop Header: Depth=1
	v_lshrrev_b32_e32 v12, 8, v5
	v_lshrrev_b64 v[6:7], 24, v[2:3]
	v_lshrrev_b64 v[8:9], 24, v[4:5]
	v_lshrrev_b32_e32 v7, 8, v2
	v_sub_u16_sdwa v15, v5, v5 dst_sel:BYTE_1 dst_unused:UNUSED_PAD src0_sel:BYTE_3 src1_sel:WORD_1
	v_sub_u16_sdwa v24, v5, v12 dst_sel:DWORD dst_unused:UNUSED_PAD src0_sel:WORD_1 src1_sel:DWORD
	v_sub_u16_sdwa v25, v12, v5 dst_sel:BYTE_1 dst_unused:UNUSED_PAD src0_sel:DWORD src1_sel:DWORD
	v_sub_u16_e32 v9, v5, v8
	v_lshrrev_b32_e32 v11, 8, v3
	v_lshrrev_b32_e32 v10, 24, v3
	v_sub_u16_sdwa v14, v6, v2 dst_sel:BYTE_1 dst_unused:UNUSED_PAD src0_sel:DWORD src1_sel:WORD_1
	v_sub_u16_sdwa v21, v2, v7 dst_sel:DWORD dst_unused:UNUSED_PAD src0_sel:WORD_1 src1_sel:DWORD
	v_sub_u16_sdwa v22, v7, v2 dst_sel:BYTE_1 dst_unused:UNUSED_PAD src0_sel:DWORD src1_sel:DWORD
	v_sub_u16_sdwa v23, v2, v5 dst_sel:DWORD dst_unused:UNUSED_PAD src0_sel:DWORD src1_sel:BYTE_3
	v_lshrrev_b32_e32 v13, 8, v4
	v_or_b32_sdwa v15, v24, v15 dst_sel:WORD_1 dst_unused:UNUSED_PAD src0_sel:BYTE_0 src1_sel:DWORD
	v_or_b32_sdwa v9, v9, v25 dst_sel:DWORD dst_unused:UNUSED_PAD src0_sel:BYTE_0 src1_sel:DWORD
	v_sub_u16_sdwa v17, v10, v3 dst_sel:BYTE_1 dst_unused:UNUSED_PAD src0_sel:DWORD src1_sel:WORD_1
	v_sub_u16_sdwa v18, v3, v11 dst_sel:DWORD dst_unused:UNUSED_PAD src0_sel:WORD_1 src1_sel:DWORD
	v_sub_u16_sdwa v19, v11, v3 dst_sel:BYTE_1 dst_unused:UNUSED_PAD src0_sel:DWORD src1_sel:DWORD
	v_sub_u16_e32 v20, v3, v6
	v_sub_u16_sdwa v16, v8, v4 dst_sel:BYTE_1 dst_unused:UNUSED_PAD src0_sel:DWORD src1_sel:WORD_1
	v_sub_u16_sdwa v26, v4, v13 dst_sel:DWORD dst_unused:UNUSED_PAD src0_sel:WORD_1 src1_sel:DWORD
	v_sub_u16_sdwa v27, v13, v4 dst_sel:BYTE_1 dst_unused:UNUSED_PAD src0_sel:DWORD src1_sel:DWORD
	v_or_b32_sdwa v15, v9, v15 dst_sel:DWORD dst_unused:UNUSED_PAD src0_sel:WORD_0 src1_sel:DWORD
	v_or_b32_sdwa v9, v21, v14 dst_sel:WORD_1 dst_unused:UNUSED_PAD src0_sel:BYTE_0 src1_sel:DWORD
	v_or_b32_sdwa v14, v23, v22 dst_sel:DWORD dst_unused:UNUSED_PAD src0_sel:BYTE_0 src1_sel:DWORD
	v_or_b32_sdwa v16, v26, v16 dst_sel:WORD_1 dst_unused:UNUSED_PAD src0_sel:BYTE_0 src1_sel:DWORD
	v_or_b32_sdwa v26, v4, v27 dst_sel:DWORD dst_unused:UNUSED_PAD src0_sel:BYTE_0 src1_sel:DWORD
	v_or_b32_sdwa v14, v14, v9 dst_sel:DWORD dst_unused:UNUSED_PAD src0_sel:WORD_0 src1_sel:DWORD
	v_or_b32_sdwa v9, v18, v17 dst_sel:WORD_1 dst_unused:UNUSED_PAD src0_sel:BYTE_0 src1_sel:DWORD
	v_or_b32_sdwa v17, v20, v19 dst_sel:DWORD dst_unused:UNUSED_PAD src0_sel:BYTE_0 src1_sel:DWORD
	v_or_b32_sdwa v16, v26, v16 dst_sel:DWORD dst_unused:UNUSED_PAD src0_sel:WORD_0 src1_sel:DWORD
	v_or_b32_sdwa v9, v17, v9 dst_sel:DWORD dst_unused:UNUSED_PAD src0_sel:WORD_0 src1_sel:DWORD
	ds_write_b8 v0, v10
	s_waitcnt lgkmcnt(0)
	s_barrier
	s_and_saveexec_b64 s[0:1], vcc
	s_cbranch_execz .LBB16_2
; %bb.4:                                ;   in Loop: Header=BB16_3 Depth=1
	ds_read_u8 v17, v1
	s_waitcnt lgkmcnt(0)
	v_sub_u16_e32 v17, v4, v17
	v_perm_b32 v16, v17, v16, s5
	s_branch .LBB16_2
.LBB16_5:
	s_add_u32 s0, s2, s4
	s_addc_u32 s1, s3, 0
	v_mov_b32_e32 v1, s1
	v_add_co_u32_e32 v0, vcc, s0, v0
	v_addc_co_u32_e32 v1, vcc, 0, v1, vcc
	v_lshrrev_b32_e32 v6, 8, v4
	global_store_byte v[0:1], v4, off
	global_store_byte v[0:1], v6, off offset:256
	global_store_byte_d16_hi v[0:1], v4, off offset:512
	v_lshrrev_b32_e32 v4, 24, v4
	global_store_byte v[0:1], v4, off offset:768
	global_store_byte v[0:1], v5, off offset:1024
	v_lshrrev_b32_e32 v4, 8, v5
	global_store_byte v[0:1], v4, off offset:1280
	global_store_byte_d16_hi v[0:1], v5, off offset:1536
	v_lshrrev_b32_e32 v4, 24, v5
	global_store_byte v[0:1], v4, off offset:1792
	global_store_byte v[0:1], v2, off offset:2048
	v_lshrrev_b32_e32 v4, 8, v2
	;; [unrolled: 6-line block ×3, first 2 shown]
	global_store_byte v[0:1], v2, off offset:3328
	global_store_byte_d16_hi v[0:1], v3, off offset:3584
	v_lshrrev_b32_e32 v2, 24, v3
	global_store_byte v[0:1], v2, off offset:3840
	s_endpgm
	.section	.rodata,"a",@progbits
	.p2align	6, 0x0
	.amdhsa_kernel _Z6kernelI13subtract_leftLj256ELj16ELb0EJPaS1_jEEvDpT3_
		.amdhsa_group_segment_fixed_size 512
		.amdhsa_private_segment_fixed_size 0
		.amdhsa_kernarg_size 20
		.amdhsa_user_sgpr_count 6
		.amdhsa_user_sgpr_private_segment_buffer 1
		.amdhsa_user_sgpr_dispatch_ptr 0
		.amdhsa_user_sgpr_queue_ptr 0
		.amdhsa_user_sgpr_kernarg_segment_ptr 1
		.amdhsa_user_sgpr_dispatch_id 0
		.amdhsa_user_sgpr_flat_scratch_init 0
		.amdhsa_user_sgpr_kernarg_preload_length 0
		.amdhsa_user_sgpr_kernarg_preload_offset 0
		.amdhsa_user_sgpr_private_segment_size 0
		.amdhsa_uses_dynamic_stack 0
		.amdhsa_system_sgpr_private_segment_wavefront_offset 0
		.amdhsa_system_sgpr_workgroup_id_x 1
		.amdhsa_system_sgpr_workgroup_id_y 0
		.amdhsa_system_sgpr_workgroup_id_z 0
		.amdhsa_system_sgpr_workgroup_info 0
		.amdhsa_system_vgpr_workitem_id 0
		.amdhsa_next_free_vgpr 28
		.amdhsa_next_free_sgpr 8
		.amdhsa_accum_offset 28
		.amdhsa_reserve_vcc 1
		.amdhsa_reserve_flat_scratch 0
		.amdhsa_float_round_mode_32 0
		.amdhsa_float_round_mode_16_64 0
		.amdhsa_float_denorm_mode_32 3
		.amdhsa_float_denorm_mode_16_64 3
		.amdhsa_dx10_clamp 1
		.amdhsa_ieee_mode 1
		.amdhsa_fp16_overflow 0
		.amdhsa_tg_split 0
		.amdhsa_exception_fp_ieee_invalid_op 0
		.amdhsa_exception_fp_denorm_src 0
		.amdhsa_exception_fp_ieee_div_zero 0
		.amdhsa_exception_fp_ieee_overflow 0
		.amdhsa_exception_fp_ieee_underflow 0
		.amdhsa_exception_fp_ieee_inexact 0
		.amdhsa_exception_int_div_zero 0
	.end_amdhsa_kernel
	.section	.text._Z6kernelI13subtract_leftLj256ELj16ELb0EJPaS1_jEEvDpT3_,"axG",@progbits,_Z6kernelI13subtract_leftLj256ELj16ELb0EJPaS1_jEEvDpT3_,comdat
.Lfunc_end16:
	.size	_Z6kernelI13subtract_leftLj256ELj16ELb0EJPaS1_jEEvDpT3_, .Lfunc_end16-_Z6kernelI13subtract_leftLj256ELj16ELb0EJPaS1_jEEvDpT3_
                                        ; -- End function
	.section	.AMDGPU.csdata,"",@progbits
; Kernel info:
; codeLenInByte = 1112
; NumSgprs: 12
; NumVgprs: 28
; NumAgprs: 0
; TotalNumVgprs: 28
; ScratchSize: 0
; MemoryBound: 0
; FloatMode: 240
; IeeeMode: 1
; LDSByteSize: 512 bytes/workgroup (compile time only)
; SGPRBlocks: 1
; VGPRBlocks: 3
; NumSGPRsForWavesPerEU: 12
; NumVGPRsForWavesPerEU: 28
; AccumOffset: 28
; Occupancy: 8
; WaveLimiterHint : 1
; COMPUTE_PGM_RSRC2:SCRATCH_EN: 0
; COMPUTE_PGM_RSRC2:USER_SGPR: 6
; COMPUTE_PGM_RSRC2:TRAP_HANDLER: 0
; COMPUTE_PGM_RSRC2:TGID_X_EN: 1
; COMPUTE_PGM_RSRC2:TGID_Y_EN: 0
; COMPUTE_PGM_RSRC2:TGID_Z_EN: 0
; COMPUTE_PGM_RSRC2:TIDIG_COMP_CNT: 0
; COMPUTE_PGM_RSRC3_GFX90A:ACCUM_OFFSET: 6
; COMPUTE_PGM_RSRC3_GFX90A:TG_SPLIT: 0
	.section	.text._Z6kernelI13subtract_leftLj256ELj32ELb0EJPaS1_jEEvDpT3_,"axG",@progbits,_Z6kernelI13subtract_leftLj256ELj32ELb0EJPaS1_jEEvDpT3_,comdat
	.protected	_Z6kernelI13subtract_leftLj256ELj32ELb0EJPaS1_jEEvDpT3_ ; -- Begin function _Z6kernelI13subtract_leftLj256ELj32ELb0EJPaS1_jEEvDpT3_
	.globl	_Z6kernelI13subtract_leftLj256ELj32ELb0EJPaS1_jEEvDpT3_
	.p2align	8
	.type	_Z6kernelI13subtract_leftLj256ELj32ELb0EJPaS1_jEEvDpT3_,@function
_Z6kernelI13subtract_leftLj256ELj32ELb0EJPaS1_jEEvDpT3_: ; @_Z6kernelI13subtract_leftLj256ELj32ELb0EJPaS1_jEEvDpT3_
; %bb.0:
	s_load_dwordx4 s[0:3], s[4:5], 0x0
	s_load_dword s7, s[4:5], 0x10
	s_lshl_b32 s4, s6, 13
	s_waitcnt lgkmcnt(0)
	s_add_u32 s0, s0, s4
	s_addc_u32 s1, s1, 0
	v_mov_b32_e32 v1, s1
	v_add_co_u32_e32 v2, vcc, s0, v0
	v_addc_co_u32_e32 v1, vcc, 0, v1, vcc
	global_load_ubyte v32, v0, s[0:1]
	global_load_ubyte v31, v0, s[0:1] offset:256
	global_load_ubyte v30, v0, s[0:1] offset:512
	;; [unrolled: 1-line block ×15, first 2 shown]
	s_movk_i32 s0, 0x1000
	v_add_co_u32_e32 v34, vcc, s0, v2
	v_addc_co_u32_e32 v35, vcc, 0, v1, vcc
	global_load_ubyte v16, v[34:35], off
	global_load_ubyte v15, v[34:35], off offset:256
	global_load_ubyte v14, v[34:35], off offset:512
	;; [unrolled: 1-line block ×15, first 2 shown]
	s_cmp_eq_u32 s7, 0
	s_cbranch_scc1 .LBB17_5
; %bb.1:
	v_cmp_ne_u32_e32 vcc, 0, v0
	v_add_u32_e32 v33, -1, v0
	s_branch .LBB17_3
.LBB17_2:                               ;   in Loop: Header=BB17_3 Depth=1
	s_or_b64 exec, exec, s[0:1]
	v_sub_u16_e32 v61, v31, v32
	v_add_u16_e32 v32, v34, v32
	v_sub_u16_e32 v34, v30, v31
	v_add_u16_e32 v31, v61, v31
	v_sub_u16_e32 v61, v29, v30
	v_sub_u16_e32 v35, v1, v2
	;; [unrolled: 1-line block ×27, first 2 shown]
	v_add_u16_e32 v30, v34, v30
	v_sub_u16_e32 v34, v28, v29
	v_add_u16_e32 v29, v61, v29
	v_sub_u16_e32 v61, v27, v28
	s_add_i32 s7, s7, -1
	v_add_u16_e32 v28, v34, v28
	v_add_u16_e32 v27, v61, v27
	;; [unrolled: 1-line block ×28, first 2 shown]
	s_cmp_lg_u32 s7, 0
	s_barrier
	s_cbranch_scc0 .LBB17_5
.LBB17_3:                               ; =>This Inner Loop Header: Depth=1
	s_waitcnt vmcnt(31)
	v_mov_b32_e32 v34, v32
	s_waitcnt vmcnt(0)
	ds_write_b8 v0, v1
	s_waitcnt lgkmcnt(0)
	s_barrier
	s_and_saveexec_b64 s[0:1], vcc
	s_cbranch_execz .LBB17_2
; %bb.4:                                ;   in Loop: Header=BB17_3 Depth=1
	ds_read_u8 v34, v33
	s_waitcnt lgkmcnt(0)
	v_sub_u16_e32 v34, v32, v34
	s_branch .LBB17_2
.LBB17_5:
	s_add_u32 s0, s2, s4
	s_addc_u32 s1, s3, 0
	v_mov_b32_e32 v33, s1
	v_add_co_u32_e32 v34, vcc, s0, v0
	v_addc_co_u32_e32 v35, vcc, 0, v33, vcc
	s_movk_i32 s0, 0x1000
	s_waitcnt vmcnt(31)
	global_store_byte v[34:35], v32, off
	s_waitcnt vmcnt(31)
	global_store_byte v[34:35], v31, off offset:256
	s_waitcnt vmcnt(31)
	global_store_byte v[34:35], v30, off offset:512
	;; [unrolled: 2-line block ×15, first 2 shown]
	v_add_co_u32_e32 v18, vcc, s0, v34
	v_addc_co_u32_e32 v19, vcc, 0, v35, vcc
	s_waitcnt vmcnt(31)
	global_store_byte v[18:19], v16, off
	s_waitcnt vmcnt(31)
	global_store_byte v[18:19], v15, off offset:256
	s_waitcnt vmcnt(31)
	global_store_byte v[18:19], v14, off offset:512
	;; [unrolled: 2-line block ×15, first 2 shown]
	s_endpgm
	.section	.rodata,"a",@progbits
	.p2align	6, 0x0
	.amdhsa_kernel _Z6kernelI13subtract_leftLj256ELj32ELb0EJPaS1_jEEvDpT3_
		.amdhsa_group_segment_fixed_size 512
		.amdhsa_private_segment_fixed_size 0
		.amdhsa_kernarg_size 20
		.amdhsa_user_sgpr_count 6
		.amdhsa_user_sgpr_private_segment_buffer 1
		.amdhsa_user_sgpr_dispatch_ptr 0
		.amdhsa_user_sgpr_queue_ptr 0
		.amdhsa_user_sgpr_kernarg_segment_ptr 1
		.amdhsa_user_sgpr_dispatch_id 0
		.amdhsa_user_sgpr_flat_scratch_init 0
		.amdhsa_user_sgpr_kernarg_preload_length 0
		.amdhsa_user_sgpr_kernarg_preload_offset 0
		.amdhsa_user_sgpr_private_segment_size 0
		.amdhsa_uses_dynamic_stack 0
		.amdhsa_system_sgpr_private_segment_wavefront_offset 0
		.amdhsa_system_sgpr_workgroup_id_x 1
		.amdhsa_system_sgpr_workgroup_id_y 0
		.amdhsa_system_sgpr_workgroup_id_z 0
		.amdhsa_system_sgpr_workgroup_info 0
		.amdhsa_system_vgpr_workitem_id 0
		.amdhsa_next_free_vgpr 62
		.amdhsa_next_free_sgpr 8
		.amdhsa_accum_offset 64
		.amdhsa_reserve_vcc 1
		.amdhsa_reserve_flat_scratch 0
		.amdhsa_float_round_mode_32 0
		.amdhsa_float_round_mode_16_64 0
		.amdhsa_float_denorm_mode_32 3
		.amdhsa_float_denorm_mode_16_64 3
		.amdhsa_dx10_clamp 1
		.amdhsa_ieee_mode 1
		.amdhsa_fp16_overflow 0
		.amdhsa_tg_split 0
		.amdhsa_exception_fp_ieee_invalid_op 0
		.amdhsa_exception_fp_denorm_src 0
		.amdhsa_exception_fp_ieee_div_zero 0
		.amdhsa_exception_fp_ieee_overflow 0
		.amdhsa_exception_fp_ieee_underflow 0
		.amdhsa_exception_fp_ieee_inexact 0
		.amdhsa_exception_int_div_zero 0
	.end_amdhsa_kernel
	.section	.text._Z6kernelI13subtract_leftLj256ELj32ELb0EJPaS1_jEEvDpT3_,"axG",@progbits,_Z6kernelI13subtract_leftLj256ELj32ELb0EJPaS1_jEEvDpT3_,comdat
.Lfunc_end17:
	.size	_Z6kernelI13subtract_leftLj256ELj32ELb0EJPaS1_jEEvDpT3_, .Lfunc_end17-_Z6kernelI13subtract_leftLj256ELj32ELb0EJPaS1_jEEvDpT3_
                                        ; -- End function
	.section	.AMDGPU.csdata,"",@progbits
; Kernel info:
; codeLenInByte = 1080
; NumSgprs: 12
; NumVgprs: 62
; NumAgprs: 0
; TotalNumVgprs: 62
; ScratchSize: 0
; MemoryBound: 0
; FloatMode: 240
; IeeeMode: 1
; LDSByteSize: 512 bytes/workgroup (compile time only)
; SGPRBlocks: 1
; VGPRBlocks: 7
; NumSGPRsForWavesPerEU: 12
; NumVGPRsForWavesPerEU: 62
; AccumOffset: 64
; Occupancy: 8
; WaveLimiterHint : 1
; COMPUTE_PGM_RSRC2:SCRATCH_EN: 0
; COMPUTE_PGM_RSRC2:USER_SGPR: 6
; COMPUTE_PGM_RSRC2:TRAP_HANDLER: 0
; COMPUTE_PGM_RSRC2:TGID_X_EN: 1
; COMPUTE_PGM_RSRC2:TGID_Y_EN: 0
; COMPUTE_PGM_RSRC2:TGID_Z_EN: 0
; COMPUTE_PGM_RSRC2:TIDIG_COMP_CNT: 0
; COMPUTE_PGM_RSRC3_GFX90A:ACCUM_OFFSET: 15
; COMPUTE_PGM_RSRC3_GFX90A:TG_SPLIT: 0
	.section	.text._Z6kernelI13subtract_leftLj256ELj1ELb0EJPxS1_jEEvDpT3_,"axG",@progbits,_Z6kernelI13subtract_leftLj256ELj1ELb0EJPxS1_jEEvDpT3_,comdat
	.protected	_Z6kernelI13subtract_leftLj256ELj1ELb0EJPxS1_jEEvDpT3_ ; -- Begin function _Z6kernelI13subtract_leftLj256ELj1ELb0EJPxS1_jEEvDpT3_
	.globl	_Z6kernelI13subtract_leftLj256ELj1ELb0EJPxS1_jEEvDpT3_
	.p2align	8
	.type	_Z6kernelI13subtract_leftLj256ELj1ELb0EJPxS1_jEEvDpT3_,@function
_Z6kernelI13subtract_leftLj256ELj1ELb0EJPxS1_jEEvDpT3_: ; @_Z6kernelI13subtract_leftLj256ELj1ELb0EJPxS1_jEEvDpT3_
; %bb.0:
	s_load_dwordx4 s[0:3], s[4:5], 0x0
	s_load_dword s8, s[4:5], 0x10
	s_lshl_b32 s4, s6, 8
	s_mov_b32 s5, 0
	s_lshl_b64 s[4:5], s[4:5], 3
	s_waitcnt lgkmcnt(0)
	s_add_u32 s0, s0, s4
	s_addc_u32 s1, s1, s5
	v_lshlrev_b32_e32 v4, 3, v0
	global_load_dwordx2 v[2:3], v4, s[0:1]
	s_cmp_eq_u32 s8, 0
	s_cbranch_scc1 .LBB18_5
; %bb.1:
	v_cmp_ne_u32_e32 vcc, 0, v0
	v_add_u32_e32 v5, -8, v4
	s_branch .LBB18_3
.LBB18_2:                               ;   in Loop: Header=BB18_3 Depth=1
	s_or_b64 exec, exec, s[6:7]
	v_add_co_u32_e64 v2, s[0:1], v0, v2
	s_add_i32 s8, s8, -1
	v_addc_co_u32_e64 v3, s[0:1], v1, v3, s[0:1]
	s_cmp_lg_u32 s8, 0
	s_barrier
	s_cbranch_scc0 .LBB18_5
.LBB18_3:                               ; =>This Inner Loop Header: Depth=1
	s_waitcnt vmcnt(0)
	v_pk_mov_b32 v[0:1], v[2:3], v[2:3] op_sel:[0,1]
	ds_write_b64 v4, v[2:3]
	s_waitcnt lgkmcnt(0)
	s_barrier
	s_and_saveexec_b64 s[6:7], vcc
	s_cbranch_execz .LBB18_2
; %bb.4:                                ;   in Loop: Header=BB18_3 Depth=1
	ds_read_b64 v[0:1], v5
	s_waitcnt lgkmcnt(0)
	v_sub_co_u32_e64 v0, s[0:1], v2, v0
	v_subb_co_u32_e64 v1, s[0:1], v3, v1, s[0:1]
	s_branch .LBB18_2
.LBB18_5:
	s_add_u32 s0, s2, s4
	s_addc_u32 s1, s3, s5
	s_waitcnt vmcnt(0)
	global_store_dwordx2 v4, v[2:3], s[0:1]
	s_endpgm
	.section	.rodata,"a",@progbits
	.p2align	6, 0x0
	.amdhsa_kernel _Z6kernelI13subtract_leftLj256ELj1ELb0EJPxS1_jEEvDpT3_
		.amdhsa_group_segment_fixed_size 4096
		.amdhsa_private_segment_fixed_size 0
		.amdhsa_kernarg_size 20
		.amdhsa_user_sgpr_count 6
		.amdhsa_user_sgpr_private_segment_buffer 1
		.amdhsa_user_sgpr_dispatch_ptr 0
		.amdhsa_user_sgpr_queue_ptr 0
		.amdhsa_user_sgpr_kernarg_segment_ptr 1
		.amdhsa_user_sgpr_dispatch_id 0
		.amdhsa_user_sgpr_flat_scratch_init 0
		.amdhsa_user_sgpr_kernarg_preload_length 0
		.amdhsa_user_sgpr_kernarg_preload_offset 0
		.amdhsa_user_sgpr_private_segment_size 0
		.amdhsa_uses_dynamic_stack 0
		.amdhsa_system_sgpr_private_segment_wavefront_offset 0
		.amdhsa_system_sgpr_workgroup_id_x 1
		.amdhsa_system_sgpr_workgroup_id_y 0
		.amdhsa_system_sgpr_workgroup_id_z 0
		.amdhsa_system_sgpr_workgroup_info 0
		.amdhsa_system_vgpr_workitem_id 0
		.amdhsa_next_free_vgpr 6
		.amdhsa_next_free_sgpr 9
		.amdhsa_accum_offset 8
		.amdhsa_reserve_vcc 1
		.amdhsa_reserve_flat_scratch 0
		.amdhsa_float_round_mode_32 0
		.amdhsa_float_round_mode_16_64 0
		.amdhsa_float_denorm_mode_32 3
		.amdhsa_float_denorm_mode_16_64 3
		.amdhsa_dx10_clamp 1
		.amdhsa_ieee_mode 1
		.amdhsa_fp16_overflow 0
		.amdhsa_tg_split 0
		.amdhsa_exception_fp_ieee_invalid_op 0
		.amdhsa_exception_fp_denorm_src 0
		.amdhsa_exception_fp_ieee_div_zero 0
		.amdhsa_exception_fp_ieee_overflow 0
		.amdhsa_exception_fp_ieee_underflow 0
		.amdhsa_exception_fp_ieee_inexact 0
		.amdhsa_exception_int_div_zero 0
	.end_amdhsa_kernel
	.section	.text._Z6kernelI13subtract_leftLj256ELj1ELb0EJPxS1_jEEvDpT3_,"axG",@progbits,_Z6kernelI13subtract_leftLj256ELj1ELb0EJPxS1_jEEvDpT3_,comdat
.Lfunc_end18:
	.size	_Z6kernelI13subtract_leftLj256ELj1ELb0EJPxS1_jEEvDpT3_, .Lfunc_end18-_Z6kernelI13subtract_leftLj256ELj1ELb0EJPxS1_jEEvDpT3_
                                        ; -- End function
	.section	.AMDGPU.csdata,"",@progbits
; Kernel info:
; codeLenInByte = 200
; NumSgprs: 13
; NumVgprs: 6
; NumAgprs: 0
; TotalNumVgprs: 6
; ScratchSize: 0
; MemoryBound: 0
; FloatMode: 240
; IeeeMode: 1
; LDSByteSize: 4096 bytes/workgroup (compile time only)
; SGPRBlocks: 1
; VGPRBlocks: 0
; NumSGPRsForWavesPerEU: 13
; NumVGPRsForWavesPerEU: 6
; AccumOffset: 8
; Occupancy: 8
; WaveLimiterHint : 0
; COMPUTE_PGM_RSRC2:SCRATCH_EN: 0
; COMPUTE_PGM_RSRC2:USER_SGPR: 6
; COMPUTE_PGM_RSRC2:TRAP_HANDLER: 0
; COMPUTE_PGM_RSRC2:TGID_X_EN: 1
; COMPUTE_PGM_RSRC2:TGID_Y_EN: 0
; COMPUTE_PGM_RSRC2:TGID_Z_EN: 0
; COMPUTE_PGM_RSRC2:TIDIG_COMP_CNT: 0
; COMPUTE_PGM_RSRC3_GFX90A:ACCUM_OFFSET: 1
; COMPUTE_PGM_RSRC3_GFX90A:TG_SPLIT: 0
	.section	.text._Z6kernelI13subtract_leftLj256ELj3ELb0EJPxS1_jEEvDpT3_,"axG",@progbits,_Z6kernelI13subtract_leftLj256ELj3ELb0EJPxS1_jEEvDpT3_,comdat
	.protected	_Z6kernelI13subtract_leftLj256ELj3ELb0EJPxS1_jEEvDpT3_ ; -- Begin function _Z6kernelI13subtract_leftLj256ELj3ELb0EJPxS1_jEEvDpT3_
	.globl	_Z6kernelI13subtract_leftLj256ELj3ELb0EJPxS1_jEEvDpT3_
	.p2align	8
	.type	_Z6kernelI13subtract_leftLj256ELj3ELb0EJPxS1_jEEvDpT3_,@function
_Z6kernelI13subtract_leftLj256ELj3ELb0EJPxS1_jEEvDpT3_: ; @_Z6kernelI13subtract_leftLj256ELj3ELb0EJPxS1_jEEvDpT3_
; %bb.0:
	s_load_dwordx4 s[0:3], s[4:5], 0x0
	s_load_dword s8, s[4:5], 0x10
	s_mul_i32 s4, s6, 0x300
	s_mov_b32 s5, 0
	s_lshl_b64 s[4:5], s[4:5], 3
	s_waitcnt lgkmcnt(0)
	s_add_u32 s0, s0, s4
	s_addc_u32 s1, s1, s5
	v_lshlrev_b32_e32 v10, 3, v0
	v_mov_b32_e32 v1, s1
	v_add_co_u32_e32 v2, vcc, s0, v10
	v_addc_co_u32_e32 v1, vcc, 0, v1, vcc
	v_add_co_u32_e32 v8, vcc, 0x1000, v2
	v_addc_co_u32_e32 v9, vcc, 0, v1, vcc
	global_load_dwordx2 v[6:7], v10, s[0:1]
	global_load_dwordx2 v[4:5], v10, s[0:1] offset:2048
	global_load_dwordx2 v[2:3], v[8:9], off
	s_cmp_eq_u32 s8, 0
	s_cbranch_scc1 .LBB19_6
; %bb.1:
	v_cmp_ne_u32_e32 vcc, 0, v0
	v_add_u32_e32 v11, -8, v10
.LBB19_2:                               ; =>This Inner Loop Header: Depth=1
	s_waitcnt vmcnt(2)
	v_pk_mov_b32 v[0:1], v[6:7], v[6:7] op_sel:[0,1]
	s_waitcnt vmcnt(0)
	ds_write_b64 v10, v[2:3]
	s_waitcnt lgkmcnt(0)
	s_barrier
	s_and_saveexec_b64 s[6:7], vcc
	s_cbranch_execz .LBB19_4
; %bb.3:                                ;   in Loop: Header=BB19_2 Depth=1
	ds_read_b64 v[0:1], v11
	s_waitcnt lgkmcnt(0)
	v_sub_co_u32_e64 v0, s[0:1], v6, v0
	v_subb_co_u32_e64 v1, s[0:1], v7, v1, s[0:1]
.LBB19_4:                               ;   in Loop: Header=BB19_2 Depth=1
	s_or_b64 exec, exec, s[6:7]
	v_add_co_u32_e64 v0, s[0:1], v0, v6
	v_addc_co_u32_e64 v1, s[0:1], v1, v7, s[0:1]
	v_lshlrev_b64 v[8:9], 1, v[4:5]
	v_sub_co_u32_e64 v8, s[0:1], v8, v6
	v_subb_co_u32_e64 v9, s[0:1], v9, v7, s[0:1]
	v_lshlrev_b64 v[2:3], 1, v[2:3]
	v_sub_co_u32_e64 v2, s[0:1], v2, v4
	s_add_i32 s8, s8, -1
	v_subb_co_u32_e64 v3, s[0:1], v3, v5, s[0:1]
	s_cmp_lg_u32 s8, 0
	s_barrier
	s_cbranch_scc0 .LBB19_7
; %bb.5:                                ;   in Loop: Header=BB19_2 Depth=1
	v_pk_mov_b32 v[6:7], v[0:1], v[0:1] op_sel:[0,1]
	v_pk_mov_b32 v[4:5], v[8:9], v[8:9] op_sel:[0,1]
	s_branch .LBB19_2
.LBB19_6:
	s_waitcnt vmcnt(1)
	v_pk_mov_b32 v[8:9], v[4:5], v[4:5] op_sel:[0,1]
	v_pk_mov_b32 v[0:1], v[6:7], v[6:7] op_sel:[0,1]
.LBB19_7:
	s_add_u32 s0, s2, s4
	s_addc_u32 s1, s3, s5
	v_mov_b32_e32 v4, s1
	v_add_co_u32_e32 v5, vcc, s0, v10
	v_addc_co_u32_e32 v4, vcc, 0, v4, vcc
	global_store_dwordx2 v10, v[0:1], s[0:1]
	global_store_dwordx2 v10, v[8:9], s[0:1] offset:2048
	v_add_co_u32_e32 v0, vcc, 0x1000, v5
	v_addc_co_u32_e32 v1, vcc, 0, v4, vcc
	s_waitcnt vmcnt(2)
	global_store_dwordx2 v[0:1], v[2:3], off
	s_endpgm
	.section	.rodata,"a",@progbits
	.p2align	6, 0x0
	.amdhsa_kernel _Z6kernelI13subtract_leftLj256ELj3ELb0EJPxS1_jEEvDpT3_
		.amdhsa_group_segment_fixed_size 4096
		.amdhsa_private_segment_fixed_size 0
		.amdhsa_kernarg_size 20
		.amdhsa_user_sgpr_count 6
		.amdhsa_user_sgpr_private_segment_buffer 1
		.amdhsa_user_sgpr_dispatch_ptr 0
		.amdhsa_user_sgpr_queue_ptr 0
		.amdhsa_user_sgpr_kernarg_segment_ptr 1
		.amdhsa_user_sgpr_dispatch_id 0
		.amdhsa_user_sgpr_flat_scratch_init 0
		.amdhsa_user_sgpr_kernarg_preload_length 0
		.amdhsa_user_sgpr_kernarg_preload_offset 0
		.amdhsa_user_sgpr_private_segment_size 0
		.amdhsa_uses_dynamic_stack 0
		.amdhsa_system_sgpr_private_segment_wavefront_offset 0
		.amdhsa_system_sgpr_workgroup_id_x 1
		.amdhsa_system_sgpr_workgroup_id_y 0
		.amdhsa_system_sgpr_workgroup_id_z 0
		.amdhsa_system_sgpr_workgroup_info 0
		.amdhsa_system_vgpr_workitem_id 0
		.amdhsa_next_free_vgpr 12
		.amdhsa_next_free_sgpr 9
		.amdhsa_accum_offset 12
		.amdhsa_reserve_vcc 1
		.amdhsa_reserve_flat_scratch 0
		.amdhsa_float_round_mode_32 0
		.amdhsa_float_round_mode_16_64 0
		.amdhsa_float_denorm_mode_32 3
		.amdhsa_float_denorm_mode_16_64 3
		.amdhsa_dx10_clamp 1
		.amdhsa_ieee_mode 1
		.amdhsa_fp16_overflow 0
		.amdhsa_tg_split 0
		.amdhsa_exception_fp_ieee_invalid_op 0
		.amdhsa_exception_fp_denorm_src 0
		.amdhsa_exception_fp_ieee_div_zero 0
		.amdhsa_exception_fp_ieee_overflow 0
		.amdhsa_exception_fp_ieee_underflow 0
		.amdhsa_exception_fp_ieee_inexact 0
		.amdhsa_exception_int_div_zero 0
	.end_amdhsa_kernel
	.section	.text._Z6kernelI13subtract_leftLj256ELj3ELb0EJPxS1_jEEvDpT3_,"axG",@progbits,_Z6kernelI13subtract_leftLj256ELj3ELb0EJPxS1_jEEvDpT3_,comdat
.Lfunc_end19:
	.size	_Z6kernelI13subtract_leftLj256ELj3ELb0EJPxS1_jEEvDpT3_, .Lfunc_end19-_Z6kernelI13subtract_leftLj256ELj3ELb0EJPxS1_jEEvDpT3_
                                        ; -- End function
	.section	.AMDGPU.csdata,"",@progbits
; Kernel info:
; codeLenInByte = 368
; NumSgprs: 13
; NumVgprs: 12
; NumAgprs: 0
; TotalNumVgprs: 12
; ScratchSize: 0
; MemoryBound: 0
; FloatMode: 240
; IeeeMode: 1
; LDSByteSize: 4096 bytes/workgroup (compile time only)
; SGPRBlocks: 1
; VGPRBlocks: 1
; NumSGPRsForWavesPerEU: 13
; NumVGPRsForWavesPerEU: 12
; AccumOffset: 12
; Occupancy: 8
; WaveLimiterHint : 1
; COMPUTE_PGM_RSRC2:SCRATCH_EN: 0
; COMPUTE_PGM_RSRC2:USER_SGPR: 6
; COMPUTE_PGM_RSRC2:TRAP_HANDLER: 0
; COMPUTE_PGM_RSRC2:TGID_X_EN: 1
; COMPUTE_PGM_RSRC2:TGID_Y_EN: 0
; COMPUTE_PGM_RSRC2:TGID_Z_EN: 0
; COMPUTE_PGM_RSRC2:TIDIG_COMP_CNT: 0
; COMPUTE_PGM_RSRC3_GFX90A:ACCUM_OFFSET: 2
; COMPUTE_PGM_RSRC3_GFX90A:TG_SPLIT: 0
	.section	.text._Z6kernelI13subtract_leftLj256ELj4ELb0EJPxS1_jEEvDpT3_,"axG",@progbits,_Z6kernelI13subtract_leftLj256ELj4ELb0EJPxS1_jEEvDpT3_,comdat
	.protected	_Z6kernelI13subtract_leftLj256ELj4ELb0EJPxS1_jEEvDpT3_ ; -- Begin function _Z6kernelI13subtract_leftLj256ELj4ELb0EJPxS1_jEEvDpT3_
	.globl	_Z6kernelI13subtract_leftLj256ELj4ELb0EJPxS1_jEEvDpT3_
	.p2align	8
	.type	_Z6kernelI13subtract_leftLj256ELj4ELb0EJPxS1_jEEvDpT3_,@function
_Z6kernelI13subtract_leftLj256ELj4ELb0EJPxS1_jEEvDpT3_: ; @_Z6kernelI13subtract_leftLj256ELj4ELb0EJPxS1_jEEvDpT3_
; %bb.0:
	s_load_dwordx4 s[0:3], s[4:5], 0x0
	s_load_dword s8, s[4:5], 0x10
	s_lshl_b32 s4, s6, 10
	s_mov_b32 s5, 0
	s_lshl_b64 s[4:5], s[4:5], 3
	s_waitcnt lgkmcnt(0)
	s_add_u32 s0, s0, s4
	s_addc_u32 s1, s1, s5
	v_lshlrev_b32_e32 v14, 3, v0
	v_mov_b32_e32 v1, s1
	v_add_co_u32_e32 v2, vcc, s0, v14
	v_addc_co_u32_e32 v1, vcc, 0, v1, vcc
	v_add_co_u32_e32 v10, vcc, 0x1000, v2
	v_addc_co_u32_e32 v11, vcc, 0, v1, vcc
	global_load_dwordx2 v[8:9], v14, s[0:1]
	global_load_dwordx2 v[4:5], v14, s[0:1] offset:2048
	global_load_dwordx2 v[6:7], v[10:11], off
	global_load_dwordx2 v[2:3], v[10:11], off offset:2048
	s_cmp_eq_u32 s8, 0
	s_cbranch_scc1 .LBB20_6
; %bb.1:
	v_cmp_ne_u32_e32 vcc, 0, v0
	v_add_u32_e32 v15, -8, v14
.LBB20_2:                               ; =>This Inner Loop Header: Depth=1
	s_waitcnt vmcnt(3)
	v_pk_mov_b32 v[0:1], v[8:9], v[8:9] op_sel:[0,1]
	s_waitcnt vmcnt(0)
	ds_write_b64 v14, v[2:3]
	s_waitcnt lgkmcnt(0)
	s_barrier
	s_and_saveexec_b64 s[6:7], vcc
	s_cbranch_execz .LBB20_4
; %bb.3:                                ;   in Loop: Header=BB20_2 Depth=1
	ds_read_b64 v[0:1], v15
	s_waitcnt lgkmcnt(0)
	v_sub_co_u32_e64 v0, s[0:1], v8, v0
	v_subb_co_u32_e64 v1, s[0:1], v9, v1, s[0:1]
.LBB20_4:                               ;   in Loop: Header=BB20_2 Depth=1
	s_or_b64 exec, exec, s[6:7]
	v_add_co_u32_e64 v10, s[0:1], v0, v8
	v_addc_co_u32_e64 v11, s[0:1], v1, v9, s[0:1]
	v_lshlrev_b64 v[0:1], 1, v[4:5]
	v_sub_co_u32_e64 v12, s[0:1], v0, v8
	v_subb_co_u32_e64 v13, s[0:1], v1, v9, s[0:1]
	v_lshlrev_b64 v[0:1], 1, v[6:7]
	v_sub_co_u32_e64 v0, s[0:1], v0, v4
	v_subb_co_u32_e64 v1, s[0:1], v1, v5, s[0:1]
	v_lshlrev_b64 v[2:3], 1, v[2:3]
	v_sub_co_u32_e64 v2, s[0:1], v2, v6
	s_add_i32 s8, s8, -1
	v_subb_co_u32_e64 v3, s[0:1], v3, v7, s[0:1]
	s_cmp_lg_u32 s8, 0
	s_barrier
	s_cbranch_scc0 .LBB20_7
; %bb.5:                                ;   in Loop: Header=BB20_2 Depth=1
	v_pk_mov_b32 v[8:9], v[10:11], v[10:11] op_sel:[0,1]
	v_pk_mov_b32 v[4:5], v[12:13], v[12:13] op_sel:[0,1]
	;; [unrolled: 1-line block ×3, first 2 shown]
	s_branch .LBB20_2
.LBB20_6:
	s_waitcnt vmcnt(1)
	v_pk_mov_b32 v[0:1], v[6:7], v[6:7] op_sel:[0,1]
	v_pk_mov_b32 v[12:13], v[4:5], v[4:5] op_sel:[0,1]
	;; [unrolled: 1-line block ×3, first 2 shown]
.LBB20_7:
	s_add_u32 s0, s2, s4
	s_addc_u32 s1, s3, s5
	v_mov_b32_e32 v4, s1
	v_add_co_u32_e32 v5, vcc, s0, v14
	v_addc_co_u32_e32 v6, vcc, 0, v4, vcc
	v_add_co_u32_e32 v4, vcc, 0x1000, v5
	v_addc_co_u32_e32 v5, vcc, 0, v6, vcc
	global_store_dwordx2 v14, v[10:11], s[0:1]
	global_store_dwordx2 v14, v[12:13], s[0:1] offset:2048
	global_store_dwordx2 v[4:5], v[0:1], off
	s_waitcnt vmcnt(3)
	global_store_dwordx2 v[4:5], v[2:3], off offset:2048
	s_endpgm
	.section	.rodata,"a",@progbits
	.p2align	6, 0x0
	.amdhsa_kernel _Z6kernelI13subtract_leftLj256ELj4ELb0EJPxS1_jEEvDpT3_
		.amdhsa_group_segment_fixed_size 4096
		.amdhsa_private_segment_fixed_size 0
		.amdhsa_kernarg_size 20
		.amdhsa_user_sgpr_count 6
		.amdhsa_user_sgpr_private_segment_buffer 1
		.amdhsa_user_sgpr_dispatch_ptr 0
		.amdhsa_user_sgpr_queue_ptr 0
		.amdhsa_user_sgpr_kernarg_segment_ptr 1
		.amdhsa_user_sgpr_dispatch_id 0
		.amdhsa_user_sgpr_flat_scratch_init 0
		.amdhsa_user_sgpr_kernarg_preload_length 0
		.amdhsa_user_sgpr_kernarg_preload_offset 0
		.amdhsa_user_sgpr_private_segment_size 0
		.amdhsa_uses_dynamic_stack 0
		.amdhsa_system_sgpr_private_segment_wavefront_offset 0
		.amdhsa_system_sgpr_workgroup_id_x 1
		.amdhsa_system_sgpr_workgroup_id_y 0
		.amdhsa_system_sgpr_workgroup_id_z 0
		.amdhsa_system_sgpr_workgroup_info 0
		.amdhsa_system_vgpr_workitem_id 0
		.amdhsa_next_free_vgpr 16
		.amdhsa_next_free_sgpr 9
		.amdhsa_accum_offset 16
		.amdhsa_reserve_vcc 1
		.amdhsa_reserve_flat_scratch 0
		.amdhsa_float_round_mode_32 0
		.amdhsa_float_round_mode_16_64 0
		.amdhsa_float_denorm_mode_32 3
		.amdhsa_float_denorm_mode_16_64 3
		.amdhsa_dx10_clamp 1
		.amdhsa_ieee_mode 1
		.amdhsa_fp16_overflow 0
		.amdhsa_tg_split 0
		.amdhsa_exception_fp_ieee_invalid_op 0
		.amdhsa_exception_fp_denorm_src 0
		.amdhsa_exception_fp_ieee_div_zero 0
		.amdhsa_exception_fp_ieee_overflow 0
		.amdhsa_exception_fp_ieee_underflow 0
		.amdhsa_exception_fp_ieee_inexact 0
		.amdhsa_exception_int_div_zero 0
	.end_amdhsa_kernel
	.section	.text._Z6kernelI13subtract_leftLj256ELj4ELb0EJPxS1_jEEvDpT3_,"axG",@progbits,_Z6kernelI13subtract_leftLj256ELj4ELb0EJPxS1_jEEvDpT3_,comdat
.Lfunc_end20:
	.size	_Z6kernelI13subtract_leftLj256ELj4ELb0EJPxS1_jEEvDpT3_, .Lfunc_end20-_Z6kernelI13subtract_leftLj256ELj4ELb0EJPxS1_jEEvDpT3_
                                        ; -- End function
	.section	.AMDGPU.csdata,"",@progbits
; Kernel info:
; codeLenInByte = 420
; NumSgprs: 13
; NumVgprs: 16
; NumAgprs: 0
; TotalNumVgprs: 16
; ScratchSize: 0
; MemoryBound: 0
; FloatMode: 240
; IeeeMode: 1
; LDSByteSize: 4096 bytes/workgroup (compile time only)
; SGPRBlocks: 1
; VGPRBlocks: 1
; NumSGPRsForWavesPerEU: 13
; NumVGPRsForWavesPerEU: 16
; AccumOffset: 16
; Occupancy: 8
; WaveLimiterHint : 1
; COMPUTE_PGM_RSRC2:SCRATCH_EN: 0
; COMPUTE_PGM_RSRC2:USER_SGPR: 6
; COMPUTE_PGM_RSRC2:TRAP_HANDLER: 0
; COMPUTE_PGM_RSRC2:TGID_X_EN: 1
; COMPUTE_PGM_RSRC2:TGID_Y_EN: 0
; COMPUTE_PGM_RSRC2:TGID_Z_EN: 0
; COMPUTE_PGM_RSRC2:TIDIG_COMP_CNT: 0
; COMPUTE_PGM_RSRC3_GFX90A:ACCUM_OFFSET: 3
; COMPUTE_PGM_RSRC3_GFX90A:TG_SPLIT: 0
	.section	.text._Z6kernelI13subtract_leftLj256ELj8ELb0EJPxS1_jEEvDpT3_,"axG",@progbits,_Z6kernelI13subtract_leftLj256ELj8ELb0EJPxS1_jEEvDpT3_,comdat
	.protected	_Z6kernelI13subtract_leftLj256ELj8ELb0EJPxS1_jEEvDpT3_ ; -- Begin function _Z6kernelI13subtract_leftLj256ELj8ELb0EJPxS1_jEEvDpT3_
	.globl	_Z6kernelI13subtract_leftLj256ELj8ELb0EJPxS1_jEEvDpT3_
	.p2align	8
	.type	_Z6kernelI13subtract_leftLj256ELj8ELb0EJPxS1_jEEvDpT3_,@function
_Z6kernelI13subtract_leftLj256ELj8ELb0EJPxS1_jEEvDpT3_: ; @_Z6kernelI13subtract_leftLj256ELj8ELb0EJPxS1_jEEvDpT3_
; %bb.0:
	s_load_dwordx4 s[0:3], s[4:5], 0x0
	s_load_dword s8, s[4:5], 0x10
	s_lshl_b32 s4, s6, 11
	s_mov_b32 s5, 0
	s_lshl_b64 s[4:5], s[4:5], 3
	s_waitcnt lgkmcnt(0)
	s_add_u32 s0, s0, s4
	s_addc_u32 s1, s1, s5
	v_lshlrev_b32_e32 v18, 3, v0
	v_mov_b32_e32 v1, s1
	v_add_co_u32_e32 v12, vcc, s0, v18
	v_addc_co_u32_e32 v1, vcc, 0, v1, vcc
	s_movk_i32 s6, 0x1000
	v_add_co_u32_e32 v10, vcc, s6, v12
	v_addc_co_u32_e32 v11, vcc, 0, v1, vcc
	v_add_co_u32_e32 v20, vcc, 0x2000, v12
	v_addc_co_u32_e32 v21, vcc, 0, v1, vcc
	v_add_co_u32_e32 v22, vcc, 0x3000, v12
	global_load_dwordx2 v[6:7], v18, s[0:1]
	global_load_dwordx2 v[8:9], v18, s[0:1] offset:2048
	global_load_dwordx2 v[2:3], v[10:11], off
	global_load_dwordx2 v[4:5], v[10:11], off offset:2048
	v_addc_co_u32_e32 v23, vcc, 0, v1, vcc
	global_load_dwordx2 v[14:15], v[20:21], off
	global_load_dwordx2 v[16:17], v[20:21], off offset:2048
	global_load_dwordx2 v[10:11], v[22:23], off
	global_load_dwordx2 v[12:13], v[22:23], off offset:2048
	s_cmp_eq_u32 s8, 0
	s_cbranch_scc1 .LBB21_5
; %bb.1:
	v_cmp_ne_u32_e32 vcc, 0, v0
	v_add_u32_e32 v19, -8, v18
	s_branch .LBB21_3
.LBB21_2:                               ;   in Loop: Header=BB21_3 Depth=1
	s_or_b64 exec, exec, s[6:7]
	v_sub_co_u32_e64 v20, s[0:1], v12, v10
	v_subb_co_u32_e64 v21, s[0:1], v13, v11, s[0:1]
	v_sub_co_u32_e64 v22, s[0:1], v10, v16
	v_subb_co_u32_e64 v23, s[0:1], v11, v17, s[0:1]
	;; [unrolled: 2-line block ×7, first 2 shown]
	v_add_co_u32_e64 v6, s[0:1], v0, v6
	v_addc_co_u32_e64 v7, s[0:1], v1, v7, s[0:1]
	v_add_co_u32_e64 v8, s[0:1], v32, v8
	v_addc_co_u32_e64 v9, s[0:1], v33, v9, s[0:1]
	;; [unrolled: 2-line block ×7, first 2 shown]
	v_add_co_u32_e64 v12, s[0:1], v20, v12
	s_add_i32 s8, s8, -1
	v_addc_co_u32_e64 v13, s[0:1], v21, v13, s[0:1]
	s_cmp_lg_u32 s8, 0
	s_barrier
	s_cbranch_scc0 .LBB21_5
.LBB21_3:                               ; =>This Inner Loop Header: Depth=1
	s_waitcnt vmcnt(7)
	v_pk_mov_b32 v[0:1], v[6:7], v[6:7] op_sel:[0,1]
	s_waitcnt vmcnt(0)
	ds_write_b64 v18, v[12:13]
	s_waitcnt lgkmcnt(0)
	s_barrier
	s_and_saveexec_b64 s[6:7], vcc
	s_cbranch_execz .LBB21_2
; %bb.4:                                ;   in Loop: Header=BB21_3 Depth=1
	ds_read_b64 v[0:1], v19
	s_waitcnt lgkmcnt(0)
	v_sub_co_u32_e64 v0, s[0:1], v6, v0
	v_subb_co_u32_e64 v1, s[0:1], v7, v1, s[0:1]
	s_branch .LBB21_2
.LBB21_5:
	s_add_u32 s0, s2, s4
	s_addc_u32 s1, s3, s5
	v_mov_b32_e32 v0, s1
	v_add_co_u32_e32 v19, vcc, s0, v18
	v_addc_co_u32_e32 v20, vcc, 0, v0, vcc
	v_add_co_u32_e32 v0, vcc, 0x1000, v19
	v_addc_co_u32_e32 v1, vcc, 0, v20, vcc
	s_waitcnt vmcnt(7)
	global_store_dwordx2 v18, v[6:7], s[0:1]
	s_waitcnt vmcnt(7)
	global_store_dwordx2 v18, v[8:9], s[0:1] offset:2048
	s_waitcnt vmcnt(7)
	global_store_dwordx2 v[0:1], v[2:3], off
	s_waitcnt vmcnt(7)
	global_store_dwordx2 v[0:1], v[4:5], off offset:2048
	v_add_co_u32_e32 v0, vcc, 0x2000, v19
	v_addc_co_u32_e32 v1, vcc, 0, v20, vcc
	s_waitcnt vmcnt(7)
	global_store_dwordx2 v[0:1], v[14:15], off
	s_waitcnt vmcnt(7)
	global_store_dwordx2 v[0:1], v[16:17], off offset:2048
	v_add_co_u32_e32 v0, vcc, 0x3000, v19
	v_addc_co_u32_e32 v1, vcc, 0, v20, vcc
	s_waitcnt vmcnt(7)
	global_store_dwordx2 v[0:1], v[10:11], off
	s_waitcnt vmcnt(7)
	global_store_dwordx2 v[0:1], v[12:13], off offset:2048
	s_endpgm
	.section	.rodata,"a",@progbits
	.p2align	6, 0x0
	.amdhsa_kernel _Z6kernelI13subtract_leftLj256ELj8ELb0EJPxS1_jEEvDpT3_
		.amdhsa_group_segment_fixed_size 4096
		.amdhsa_private_segment_fixed_size 0
		.amdhsa_kernarg_size 20
		.amdhsa_user_sgpr_count 6
		.amdhsa_user_sgpr_private_segment_buffer 1
		.amdhsa_user_sgpr_dispatch_ptr 0
		.amdhsa_user_sgpr_queue_ptr 0
		.amdhsa_user_sgpr_kernarg_segment_ptr 1
		.amdhsa_user_sgpr_dispatch_id 0
		.amdhsa_user_sgpr_flat_scratch_init 0
		.amdhsa_user_sgpr_kernarg_preload_length 0
		.amdhsa_user_sgpr_kernarg_preload_offset 0
		.amdhsa_user_sgpr_private_segment_size 0
		.amdhsa_uses_dynamic_stack 0
		.amdhsa_system_sgpr_private_segment_wavefront_offset 0
		.amdhsa_system_sgpr_workgroup_id_x 1
		.amdhsa_system_sgpr_workgroup_id_y 0
		.amdhsa_system_sgpr_workgroup_id_z 0
		.amdhsa_system_sgpr_workgroup_info 0
		.amdhsa_system_vgpr_workitem_id 0
		.amdhsa_next_free_vgpr 34
		.amdhsa_next_free_sgpr 9
		.amdhsa_accum_offset 36
		.amdhsa_reserve_vcc 1
		.amdhsa_reserve_flat_scratch 0
		.amdhsa_float_round_mode_32 0
		.amdhsa_float_round_mode_16_64 0
		.amdhsa_float_denorm_mode_32 3
		.amdhsa_float_denorm_mode_16_64 3
		.amdhsa_dx10_clamp 1
		.amdhsa_ieee_mode 1
		.amdhsa_fp16_overflow 0
		.amdhsa_tg_split 0
		.amdhsa_exception_fp_ieee_invalid_op 0
		.amdhsa_exception_fp_denorm_src 0
		.amdhsa_exception_fp_ieee_div_zero 0
		.amdhsa_exception_fp_ieee_overflow 0
		.amdhsa_exception_fp_ieee_underflow 0
		.amdhsa_exception_fp_ieee_inexact 0
		.amdhsa_exception_int_div_zero 0
	.end_amdhsa_kernel
	.section	.text._Z6kernelI13subtract_leftLj256ELj8ELb0EJPxS1_jEEvDpT3_,"axG",@progbits,_Z6kernelI13subtract_leftLj256ELj8ELb0EJPxS1_jEEvDpT3_,comdat
.Lfunc_end21:
	.size	_Z6kernelI13subtract_leftLj256ELj8ELb0EJPxS1_jEEvDpT3_, .Lfunc_end21-_Z6kernelI13subtract_leftLj256ELj8ELb0EJPxS1_jEEvDpT3_
                                        ; -- End function
	.section	.AMDGPU.csdata,"",@progbits
; Kernel info:
; codeLenInByte = 664
; NumSgprs: 13
; NumVgprs: 34
; NumAgprs: 0
; TotalNumVgprs: 34
; ScratchSize: 0
; MemoryBound: 0
; FloatMode: 240
; IeeeMode: 1
; LDSByteSize: 4096 bytes/workgroup (compile time only)
; SGPRBlocks: 1
; VGPRBlocks: 4
; NumSGPRsForWavesPerEU: 13
; NumVGPRsForWavesPerEU: 34
; AccumOffset: 36
; Occupancy: 8
; WaveLimiterHint : 1
; COMPUTE_PGM_RSRC2:SCRATCH_EN: 0
; COMPUTE_PGM_RSRC2:USER_SGPR: 6
; COMPUTE_PGM_RSRC2:TRAP_HANDLER: 0
; COMPUTE_PGM_RSRC2:TGID_X_EN: 1
; COMPUTE_PGM_RSRC2:TGID_Y_EN: 0
; COMPUTE_PGM_RSRC2:TGID_Z_EN: 0
; COMPUTE_PGM_RSRC2:TIDIG_COMP_CNT: 0
; COMPUTE_PGM_RSRC3_GFX90A:ACCUM_OFFSET: 8
; COMPUTE_PGM_RSRC3_GFX90A:TG_SPLIT: 0
	.section	.text._Z6kernelI13subtract_leftLj256ELj16ELb0EJPxS1_jEEvDpT3_,"axG",@progbits,_Z6kernelI13subtract_leftLj256ELj16ELb0EJPxS1_jEEvDpT3_,comdat
	.protected	_Z6kernelI13subtract_leftLj256ELj16ELb0EJPxS1_jEEvDpT3_ ; -- Begin function _Z6kernelI13subtract_leftLj256ELj16ELb0EJPxS1_jEEvDpT3_
	.globl	_Z6kernelI13subtract_leftLj256ELj16ELb0EJPxS1_jEEvDpT3_
	.p2align	8
	.type	_Z6kernelI13subtract_leftLj256ELj16ELb0EJPxS1_jEEvDpT3_,@function
_Z6kernelI13subtract_leftLj256ELj16ELb0EJPxS1_jEEvDpT3_: ; @_Z6kernelI13subtract_leftLj256ELj16ELb0EJPxS1_jEEvDpT3_
; %bb.0:
	s_load_dwordx4 s[0:3], s[4:5], 0x0
	s_load_dword s8, s[4:5], 0x10
	s_lshl_b32 s4, s6, 12
	s_mov_b32 s5, 0
	s_lshl_b64 s[4:5], s[4:5], 3
	s_waitcnt lgkmcnt(0)
	s_add_u32 s0, s0, s4
	s_addc_u32 s1, s1, s5
	v_lshlrev_b32_e32 v34, 3, v0
	v_mov_b32_e32 v1, s1
	v_add_co_u32_e32 v32, vcc, s0, v34
	v_addc_co_u32_e32 v1, vcc, 0, v1, vcc
	s_movk_i32 s6, 0x1000
	v_add_co_u32_e32 v12, vcc, s6, v32
	v_addc_co_u32_e32 v13, vcc, 0, v1, vcc
	s_movk_i32 s6, 0x2000
	;; [unrolled: 3-line block ×4, first 2 shown]
	v_add_co_u32_e32 v16, vcc, s6, v32
	global_load_dwordx2 v[2:3], v[36:37], off
	v_addc_co_u32_e32 v17, vcc, 0, v1, vcc
	global_load_dwordx2 v[28:29], v34, s[0:1]
	global_load_dwordx2 v[30:31], v34, s[0:1] offset:2048
	global_load_dwordx2 v[26:27], v[12:13], off offset:2048
	global_load_dwordx2 v[8:9], v[14:15], off offset:2048
	global_load_dwordx2 v[24:25], v[36:37], off offset:2048
	global_load_dwordx2 v[10:11], v[16:17], off offset:-4096
	global_load_dwordx2 v[4:5], v[16:17], off
	global_load_dwordx2 v[6:7], v[16:17], off offset:2048
	s_movk_i32 s0, 0x5000
	v_add_co_u32_e32 v16, vcc, s0, v32
	v_addc_co_u32_e32 v17, vcc, 0, v1, vcc
	v_add_co_u32_e32 v22, vcc, 0x6000, v32
	v_addc_co_u32_e32 v23, vcc, 0, v1, vcc
	v_add_co_u32_e32 v38, vcc, 0x7000, v32
	global_load_dwordx2 v[18:19], v[16:17], off
	global_load_dwordx2 v[20:21], v[16:17], off offset:2048
	global_load_dwordx2 v[12:13], v[22:23], off
	global_load_dwordx2 v[14:15], v[22:23], off offset:2048
	v_addc_co_u32_e32 v39, vcc, 0, v1, vcc
	global_load_dwordx2 v[16:17], v[38:39], off
	global_load_dwordx2 v[32:33], v[36:37], off offset:-4096
	global_load_dwordx2 v[22:23], v[38:39], off offset:2048
	s_cmp_eq_u32 s8, 0
	s_cbranch_scc1 .LBB22_5
; %bb.1:
	v_cmp_ne_u32_e32 vcc, 0, v0
	v_add_u32_e32 v35, -8, v34
	s_branch .LBB22_3
.LBB22_2:                               ;   in Loop: Header=BB22_3 Depth=1
	s_or_b64 exec, exec, s[6:7]
	v_sub_co_u32_e64 v36, s[0:1], v22, v16
	v_subb_co_u32_e64 v37, s[0:1], v23, v17, s[0:1]
	v_sub_co_u32_e64 v38, s[0:1], v16, v14
	v_subb_co_u32_e64 v39, s[0:1], v17, v15, s[0:1]
	;; [unrolled: 2-line block ×13, first 2 shown]
	v_add_co_u32_e64 v28, s[0:1], v0, v28
	v_addc_co_u32_e64 v29, s[0:1], v1, v29, s[0:1]
	v_sub_co_u32_e64 v0, s[0:1], v32, v30
	v_subb_co_u32_e64 v1, s[0:1], v33, v31, s[0:1]
	v_add_co_u32_e64 v30, s[0:1], v60, v30
	v_addc_co_u32_e64 v31, s[0:1], v61, v31, s[0:1]
	v_sub_co_u32_e64 v60, s[0:1], v26, v32
	v_subb_co_u32_e64 v61, s[0:1], v27, v33, s[0:1]
	v_add_co_u32_e64 v32, s[0:1], v0, v32
	v_addc_co_u32_e64 v33, s[0:1], v1, v33, s[0:1]
	v_add_co_u32_e64 v26, s[0:1], v60, v26
	v_addc_co_u32_e64 v27, s[0:1], v61, v27, s[0:1]
	;; [unrolled: 2-line block ×13, first 2 shown]
	v_add_co_u32_e64 v22, s[0:1], v36, v22
	s_add_i32 s8, s8, -1
	v_addc_co_u32_e64 v23, s[0:1], v37, v23, s[0:1]
	s_cmp_lg_u32 s8, 0
	s_barrier
	s_cbranch_scc0 .LBB22_5
.LBB22_3:                               ; =>This Inner Loop Header: Depth=1
	s_waitcnt vmcnt(14)
	v_pk_mov_b32 v[0:1], v[28:29], v[28:29] op_sel:[0,1]
	s_waitcnt vmcnt(0)
	ds_write_b64 v34, v[22:23]
	s_waitcnt lgkmcnt(0)
	s_barrier
	s_and_saveexec_b64 s[6:7], vcc
	s_cbranch_execz .LBB22_2
; %bb.4:                                ;   in Loop: Header=BB22_3 Depth=1
	ds_read_b64 v[0:1], v35
	s_waitcnt lgkmcnt(0)
	v_sub_co_u32_e64 v0, s[0:1], v28, v0
	v_subb_co_u32_e64 v1, s[0:1], v29, v1, s[0:1]
	s_branch .LBB22_2
.LBB22_5:
	s_add_u32 s0, s2, s4
	s_addc_u32 s1, s3, s5
	v_mov_b32_e32 v0, s1
	v_add_co_u32_e32 v35, vcc, s0, v34
	v_addc_co_u32_e32 v36, vcc, 0, v0, vcc
	v_add_co_u32_e32 v0, vcc, 0x1000, v35
	v_addc_co_u32_e32 v1, vcc, 0, v36, vcc
	s_waitcnt vmcnt(14)
	global_store_dwordx2 v34, v[28:29], s[0:1]
	s_waitcnt vmcnt(14)
	global_store_dwordx2 v34, v[30:31], s[0:1] offset:2048
	s_waitcnt vmcnt(3)
	global_store_dwordx2 v[0:1], v[32:33], off
	global_store_dwordx2 v[0:1], v[26:27], off offset:2048
	v_add_co_u32_e32 v0, vcc, 0x2000, v35
	v_addc_co_u32_e32 v1, vcc, 0, v36, vcc
	global_store_dwordx2 v[0:1], v[2:3], off
	global_store_dwordx2 v[0:1], v[24:25], off offset:2048
	v_add_co_u32_e32 v0, vcc, 0x3000, v35
	v_addc_co_u32_e32 v1, vcc, 0, v36, vcc
	;; [unrolled: 4-line block ×6, first 2 shown]
	global_store_dwordx2 v[0:1], v[16:17], off
	s_waitcnt vmcnt(15)
	global_store_dwordx2 v[0:1], v[22:23], off offset:2048
	s_endpgm
	.section	.rodata,"a",@progbits
	.p2align	6, 0x0
	.amdhsa_kernel _Z6kernelI13subtract_leftLj256ELj16ELb0EJPxS1_jEEvDpT3_
		.amdhsa_group_segment_fixed_size 4096
		.amdhsa_private_segment_fixed_size 0
		.amdhsa_kernarg_size 20
		.amdhsa_user_sgpr_count 6
		.amdhsa_user_sgpr_private_segment_buffer 1
		.amdhsa_user_sgpr_dispatch_ptr 0
		.amdhsa_user_sgpr_queue_ptr 0
		.amdhsa_user_sgpr_kernarg_segment_ptr 1
		.amdhsa_user_sgpr_dispatch_id 0
		.amdhsa_user_sgpr_flat_scratch_init 0
		.amdhsa_user_sgpr_kernarg_preload_length 0
		.amdhsa_user_sgpr_kernarg_preload_offset 0
		.amdhsa_user_sgpr_private_segment_size 0
		.amdhsa_uses_dynamic_stack 0
		.amdhsa_system_sgpr_private_segment_wavefront_offset 0
		.amdhsa_system_sgpr_workgroup_id_x 1
		.amdhsa_system_sgpr_workgroup_id_y 0
		.amdhsa_system_sgpr_workgroup_id_z 0
		.amdhsa_system_sgpr_workgroup_info 0
		.amdhsa_system_vgpr_workitem_id 0
		.amdhsa_next_free_vgpr 62
		.amdhsa_next_free_sgpr 9
		.amdhsa_accum_offset 64
		.amdhsa_reserve_vcc 1
		.amdhsa_reserve_flat_scratch 0
		.amdhsa_float_round_mode_32 0
		.amdhsa_float_round_mode_16_64 0
		.amdhsa_float_denorm_mode_32 3
		.amdhsa_float_denorm_mode_16_64 3
		.amdhsa_dx10_clamp 1
		.amdhsa_ieee_mode 1
		.amdhsa_fp16_overflow 0
		.amdhsa_tg_split 0
		.amdhsa_exception_fp_ieee_invalid_op 0
		.amdhsa_exception_fp_denorm_src 0
		.amdhsa_exception_fp_ieee_div_zero 0
		.amdhsa_exception_fp_ieee_overflow 0
		.amdhsa_exception_fp_ieee_underflow 0
		.amdhsa_exception_fp_ieee_inexact 0
		.amdhsa_exception_int_div_zero 0
	.end_amdhsa_kernel
	.section	.text._Z6kernelI13subtract_leftLj256ELj16ELb0EJPxS1_jEEvDpT3_,"axG",@progbits,_Z6kernelI13subtract_leftLj256ELj16ELb0EJPxS1_jEEvDpT3_,comdat
.Lfunc_end22:
	.size	_Z6kernelI13subtract_leftLj256ELj16ELb0EJPxS1_jEEvDpT3_, .Lfunc_end22-_Z6kernelI13subtract_leftLj256ELj16ELb0EJPxS1_jEEvDpT3_
                                        ; -- End function
	.section	.AMDGPU.csdata,"",@progbits
; Kernel info:
; codeLenInByte = 1128
; NumSgprs: 13
; NumVgprs: 62
; NumAgprs: 0
; TotalNumVgprs: 62
; ScratchSize: 0
; MemoryBound: 0
; FloatMode: 240
; IeeeMode: 1
; LDSByteSize: 4096 bytes/workgroup (compile time only)
; SGPRBlocks: 1
; VGPRBlocks: 7
; NumSGPRsForWavesPerEU: 13
; NumVGPRsForWavesPerEU: 62
; AccumOffset: 64
; Occupancy: 8
; WaveLimiterHint : 1
; COMPUTE_PGM_RSRC2:SCRATCH_EN: 0
; COMPUTE_PGM_RSRC2:USER_SGPR: 6
; COMPUTE_PGM_RSRC2:TRAP_HANDLER: 0
; COMPUTE_PGM_RSRC2:TGID_X_EN: 1
; COMPUTE_PGM_RSRC2:TGID_Y_EN: 0
; COMPUTE_PGM_RSRC2:TGID_Z_EN: 0
; COMPUTE_PGM_RSRC2:TIDIG_COMP_CNT: 0
; COMPUTE_PGM_RSRC3_GFX90A:ACCUM_OFFSET: 15
; COMPUTE_PGM_RSRC3_GFX90A:TG_SPLIT: 0
	.section	.text._Z6kernelI13subtract_leftLj256ELj32ELb0EJPxS1_jEEvDpT3_,"axG",@progbits,_Z6kernelI13subtract_leftLj256ELj32ELb0EJPxS1_jEEvDpT3_,comdat
	.protected	_Z6kernelI13subtract_leftLj256ELj32ELb0EJPxS1_jEEvDpT3_ ; -- Begin function _Z6kernelI13subtract_leftLj256ELj32ELb0EJPxS1_jEEvDpT3_
	.globl	_Z6kernelI13subtract_leftLj256ELj32ELb0EJPxS1_jEEvDpT3_
	.p2align	8
	.type	_Z6kernelI13subtract_leftLj256ELj32ELb0EJPxS1_jEEvDpT3_,@function
_Z6kernelI13subtract_leftLj256ELj32ELb0EJPxS1_jEEvDpT3_: ; @_Z6kernelI13subtract_leftLj256ELj32ELb0EJPxS1_jEEvDpT3_
; %bb.0:
	s_load_dwordx4 s[0:3], s[4:5], 0x0
	s_load_dword s8, s[4:5], 0x10
	s_lshl_b32 s4, s6, 13
	s_mov_b32 s5, 0
	s_lshl_b64 s[4:5], s[4:5], 3
	s_waitcnt lgkmcnt(0)
	s_add_u32 s0, s0, s4
	s_addc_u32 s1, s1, s5
	v_lshlrev_b32_e32 v66, 3, v0
	v_mov_b32_e32 v1, s1
	v_add_co_u32_e32 v52, vcc, s0, v66
	v_addc_co_u32_e32 v1, vcc, 0, v1, vcc
	s_movk_i32 s6, 0x1000
	v_add_co_u32_e32 v68, vcc, s6, v52
	v_addc_co_u32_e32 v69, vcc, 0, v1, vcc
	s_movk_i32 s6, 0x2000
	;; [unrolled: 3-line block ×6, first 2 shown]
	global_load_dwordx2 v[6:7], v[8:9], off offset:2048
	global_load_dwordx2 v[2:3], v[72:73], off
	global_load_dwordx2 v[4:5], v[72:73], off offset:2048
	v_add_co_u32_e32 v8, vcc, s6, v52
	v_addc_co_u32_e32 v9, vcc, 0, v1, vcc
	s_movk_i32 s6, 0x7000
	v_add_co_u32_e32 v38, vcc, s6, v52
	v_addc_co_u32_e32 v39, vcc, 0, v1, vcc
	s_mov_b32 s6, 0x8000
	v_add_co_u32_e32 v22, vcc, s6, v52
	v_addc_co_u32_e32 v23, vcc, 0, v1, vcc
	s_mov_b32 s6, 0x9000
	;; [unrolled: 3-line block ×6, first 2 shown]
	v_add_co_u32_e32 v74, vcc, s6, v52
	v_addc_co_u32_e32 v75, vcc, 0, v1, vcc
	v_add_co_u32_e32 v76, vcc, 0xe000, v52
	v_addc_co_u32_e32 v77, vcc, 0, v1, vcc
	v_add_co_u32_e32 v78, vcc, 0xf000, v52
	global_load_dwordx2 v[26:27], v[8:9], off offset:-4096
	global_load_dwordx2 v[12:13], v[8:9], off
	global_load_dwordx2 v[14:15], v[8:9], off offset:2048
	global_load_dwordx2 v[10:11], v[22:23], off offset:-4096
	global_load_dwordx2 v[18:19], v[22:23], off
	global_load_dwordx2 v[20:21], v[22:23], off offset:2048
	global_load_dwordx2 v[16:17], v[42:43], off offset:-4096
	s_nop 0
	global_load_dwordx2 v[8:9], v[42:43], off
	global_load_dwordx2 v[50:51], v[36:37], off offset:2048
	global_load_dwordx2 v[48:49], v[38:39], off offset:2048
	;; [unrolled: 1-line block ×5, first 2 shown]
	global_load_dwordx2 v[30:31], v[46:47], off offset:-4096
	global_load_dwordx2 v[22:23], v[46:47], off
	global_load_dwordx2 v[24:25], v[46:47], off offset:2048
	v_addc_co_u32_e32 v79, vcc, 0, v1, vcc
	global_load_dwordx2 v[44:45], v[74:75], off
	global_load_dwordx2 v[46:47], v[74:75], off offset:2048
	global_load_dwordx2 v[36:37], v[76:77], off
	global_load_dwordx2 v[38:39], v[76:77], off offset:2048
	global_load_dwordx2 v[52:53], v[72:73], off offset:-4096
	global_load_dwordx2 v[54:55], v[70:71], off offset:2048
	global_load_dwordx2 v[40:41], v[78:79], off
	global_load_dwordx2 v[56:57], v[70:71], off
	global_load_dwordx2 v[58:59], v[70:71], off offset:-4096
	global_load_dwordx2 v[42:43], v[78:79], off offset:2048
	global_load_dwordx2 v[62:63], v66, s[0:1]
	global_load_dwordx2 v[60:61], v[68:69], off offset:2048
	global_load_dwordx2 v[64:65], v66, s[0:1] offset:2048
	s_cmp_eq_u32 s8, 0
	s_cbranch_scc1 .LBB23_5
; %bb.1:
	v_cmp_ne_u32_e32 vcc, 0, v0
	v_add_u32_e32 v67, -8, v66
	s_branch .LBB23_3
.LBB23_2:                               ;   in Loop: Header=BB23_3 Depth=1
	s_or_b64 exec, exec, s[6:7]
	s_waitcnt vmcnt(0)
	v_sub_co_u32_e64 v68, s[0:1], v64, v62
	v_subb_co_u32_e64 v69, s[0:1], v65, v63, s[0:1]
	v_add_co_u32_e64 v62, s[0:1], v0, v62
	v_addc_co_u32_e64 v63, s[0:1], v1, v63, s[0:1]
	v_sub_co_u32_e64 v0, s[0:1], v58, v64
	v_subb_co_u32_e64 v1, s[0:1], v59, v65, s[0:1]
	v_add_co_u32_e64 v64, s[0:1], v68, v64
	v_addc_co_u32_e64 v65, s[0:1], v69, v65, s[0:1]
	;; [unrolled: 4-line block ×31, first 2 shown]
	v_add_co_u32_e64 v42, s[0:1], v68, v42
	s_add_i32 s8, s8, -1
	v_addc_co_u32_e64 v43, s[0:1], v69, v43, s[0:1]
	s_cmp_lg_u32 s8, 0
	s_barrier
	s_cbranch_scc0 .LBB23_5
.LBB23_3:                               ; =>This Inner Loop Header: Depth=1
	s_waitcnt vmcnt(2)
	v_pk_mov_b32 v[0:1], v[62:63], v[62:63] op_sel:[0,1]
	ds_write_b64 v66, v[42:43]
	s_waitcnt lgkmcnt(0)
	s_barrier
	s_and_saveexec_b64 s[6:7], vcc
	s_cbranch_execz .LBB23_2
; %bb.4:                                ;   in Loop: Header=BB23_3 Depth=1
	ds_read_b64 v[0:1], v67
	s_waitcnt lgkmcnt(0)
	v_sub_co_u32_e64 v0, s[0:1], v62, v0
	v_subb_co_u32_e64 v1, s[0:1], v63, v1, s[0:1]
	s_branch .LBB23_2
.LBB23_5:
	s_add_u32 s0, s2, s4
	s_addc_u32 s1, s3, s5
	v_mov_b32_e32 v0, s1
	v_add_co_u32_e32 v67, vcc, s0, v66
	v_addc_co_u32_e32 v68, vcc, 0, v0, vcc
	v_add_co_u32_e32 v0, vcc, 0x1000, v67
	v_addc_co_u32_e32 v1, vcc, 0, v68, vcc
	s_waitcnt vmcnt(2)
	global_store_dwordx2 v66, v[62:63], s[0:1]
	s_waitcnt vmcnt(1)
	global_store_dwordx2 v66, v[64:65], s[0:1] offset:2048
	global_store_dwordx2 v[0:1], v[58:59], off
	global_store_dwordx2 v[0:1], v[60:61], off offset:2048
	v_add_co_u32_e32 v0, vcc, 0x2000, v67
	v_addc_co_u32_e32 v1, vcc, 0, v68, vcc
	global_store_dwordx2 v[0:1], v[56:57], off
	global_store_dwordx2 v[0:1], v[54:55], off offset:2048
	v_add_co_u32_e32 v0, vcc, 0x3000, v67
	v_addc_co_u32_e32 v1, vcc, 0, v68, vcc
	global_store_dwordx2 v[0:1], v[52:53], off
	global_store_dwordx2 v[0:1], v[6:7], off offset:2048
	v_add_co_u32_e32 v0, vcc, 0x4000, v67
	v_addc_co_u32_e32 v1, vcc, 0, v68, vcc
	global_store_dwordx2 v[0:1], v[2:3], off
	global_store_dwordx2 v[0:1], v[4:5], off offset:2048
	v_add_co_u32_e32 v0, vcc, 0x5000, v67
	v_addc_co_u32_e32 v1, vcc, 0, v68, vcc
	global_store_dwordx2 v[0:1], v[26:27], off
	global_store_dwordx2 v[0:1], v[50:51], off offset:2048
	v_add_co_u32_e32 v0, vcc, 0x6000, v67
	v_addc_co_u32_e32 v1, vcc, 0, v68, vcc
	global_store_dwordx2 v[0:1], v[12:13], off
	global_store_dwordx2 v[0:1], v[14:15], off offset:2048
	v_add_co_u32_e32 v0, vcc, 0x7000, v67
	v_addc_co_u32_e32 v1, vcc, 0, v68, vcc
	global_store_dwordx2 v[0:1], v[10:11], off
	global_store_dwordx2 v[0:1], v[48:49], off offset:2048
	v_add_co_u32_e32 v0, vcc, 0x8000, v67
	v_addc_co_u32_e32 v1, vcc, 0, v68, vcc
	global_store_dwordx2 v[0:1], v[18:19], off
	global_store_dwordx2 v[0:1], v[20:21], off offset:2048
	v_add_co_u32_e32 v0, vcc, 0x9000, v67
	v_addc_co_u32_e32 v1, vcc, 0, v68, vcc
	global_store_dwordx2 v[0:1], v[16:17], off
	global_store_dwordx2 v[0:1], v[34:35], off offset:2048
	v_add_co_u32_e32 v0, vcc, 0xa000, v67
	v_addc_co_u32_e32 v1, vcc, 0, v68, vcc
	global_store_dwordx2 v[0:1], v[8:9], off
	global_store_dwordx2 v[0:1], v[32:33], off offset:2048
	v_add_co_u32_e32 v0, vcc, 0xb000, v67
	v_addc_co_u32_e32 v1, vcc, 0, v68, vcc
	global_store_dwordx2 v[0:1], v[30:31], off
	global_store_dwordx2 v[0:1], v[28:29], off offset:2048
	v_add_co_u32_e32 v0, vcc, 0xc000, v67
	v_addc_co_u32_e32 v1, vcc, 0, v68, vcc
	global_store_dwordx2 v[0:1], v[22:23], off
	global_store_dwordx2 v[0:1], v[24:25], off offset:2048
	v_add_co_u32_e32 v0, vcc, 0xd000, v67
	v_addc_co_u32_e32 v1, vcc, 0, v68, vcc
	global_store_dwordx2 v[0:1], v[44:45], off
	global_store_dwordx2 v[0:1], v[46:47], off offset:2048
	v_add_co_u32_e32 v0, vcc, 0xe000, v67
	v_addc_co_u32_e32 v1, vcc, 0, v68, vcc
	global_store_dwordx2 v[0:1], v[36:37], off
	global_store_dwordx2 v[0:1], v[38:39], off offset:2048
	v_add_co_u32_e32 v0, vcc, 0xf000, v67
	v_addc_co_u32_e32 v1, vcc, 0, v68, vcc
	global_store_dwordx2 v[0:1], v[40:41], off
	global_store_dwordx2 v[0:1], v[42:43], off offset:2048
	s_endpgm
	.section	.rodata,"a",@progbits
	.p2align	6, 0x0
	.amdhsa_kernel _Z6kernelI13subtract_leftLj256ELj32ELb0EJPxS1_jEEvDpT3_
		.amdhsa_group_segment_fixed_size 4096
		.amdhsa_private_segment_fixed_size 0
		.amdhsa_kernarg_size 20
		.amdhsa_user_sgpr_count 6
		.amdhsa_user_sgpr_private_segment_buffer 1
		.amdhsa_user_sgpr_dispatch_ptr 0
		.amdhsa_user_sgpr_queue_ptr 0
		.amdhsa_user_sgpr_kernarg_segment_ptr 1
		.amdhsa_user_sgpr_dispatch_id 0
		.amdhsa_user_sgpr_flat_scratch_init 0
		.amdhsa_user_sgpr_kernarg_preload_length 0
		.amdhsa_user_sgpr_kernarg_preload_offset 0
		.amdhsa_user_sgpr_private_segment_size 0
		.amdhsa_uses_dynamic_stack 0
		.amdhsa_system_sgpr_private_segment_wavefront_offset 0
		.amdhsa_system_sgpr_workgroup_id_x 1
		.amdhsa_system_sgpr_workgroup_id_y 0
		.amdhsa_system_sgpr_workgroup_id_z 0
		.amdhsa_system_sgpr_workgroup_info 0
		.amdhsa_system_vgpr_workitem_id 0
		.amdhsa_next_free_vgpr 80
		.amdhsa_next_free_sgpr 9
		.amdhsa_accum_offset 80
		.amdhsa_reserve_vcc 1
		.amdhsa_reserve_flat_scratch 0
		.amdhsa_float_round_mode_32 0
		.amdhsa_float_round_mode_16_64 0
		.amdhsa_float_denorm_mode_32 3
		.amdhsa_float_denorm_mode_16_64 3
		.amdhsa_dx10_clamp 1
		.amdhsa_ieee_mode 1
		.amdhsa_fp16_overflow 0
		.amdhsa_tg_split 0
		.amdhsa_exception_fp_ieee_invalid_op 0
		.amdhsa_exception_fp_denorm_src 0
		.amdhsa_exception_fp_ieee_div_zero 0
		.amdhsa_exception_fp_ieee_overflow 0
		.amdhsa_exception_fp_ieee_underflow 0
		.amdhsa_exception_fp_ieee_inexact 0
		.amdhsa_exception_int_div_zero 0
	.end_amdhsa_kernel
	.section	.text._Z6kernelI13subtract_leftLj256ELj32ELb0EJPxS1_jEEvDpT3_,"axG",@progbits,_Z6kernelI13subtract_leftLj256ELj32ELb0EJPxS1_jEEvDpT3_,comdat
.Lfunc_end23:
	.size	_Z6kernelI13subtract_leftLj256ELj32ELb0EJPxS1_jEEvDpT3_, .Lfunc_end23-_Z6kernelI13subtract_leftLj256ELj32ELb0EJPxS1_jEEvDpT3_
                                        ; -- End function
	.section	.AMDGPU.csdata,"",@progbits
; Kernel info:
; codeLenInByte = 2108
; NumSgprs: 13
; NumVgprs: 80
; NumAgprs: 0
; TotalNumVgprs: 80
; ScratchSize: 0
; MemoryBound: 0
; FloatMode: 240
; IeeeMode: 1
; LDSByteSize: 4096 bytes/workgroup (compile time only)
; SGPRBlocks: 1
; VGPRBlocks: 9
; NumSGPRsForWavesPerEU: 13
; NumVGPRsForWavesPerEU: 80
; AccumOffset: 80
; Occupancy: 6
; WaveLimiterHint : 1
; COMPUTE_PGM_RSRC2:SCRATCH_EN: 0
; COMPUTE_PGM_RSRC2:USER_SGPR: 6
; COMPUTE_PGM_RSRC2:TRAP_HANDLER: 0
; COMPUTE_PGM_RSRC2:TGID_X_EN: 1
; COMPUTE_PGM_RSRC2:TGID_Y_EN: 0
; COMPUTE_PGM_RSRC2:TGID_Z_EN: 0
; COMPUTE_PGM_RSRC2:TIDIG_COMP_CNT: 0
; COMPUTE_PGM_RSRC3_GFX90A:ACCUM_OFFSET: 19
; COMPUTE_PGM_RSRC3_GFX90A:TG_SPLIT: 0
	.section	.text._Z6kernelI13subtract_leftLj256ELj1ELb0EJPdS1_jEEvDpT3_,"axG",@progbits,_Z6kernelI13subtract_leftLj256ELj1ELb0EJPdS1_jEEvDpT3_,comdat
	.protected	_Z6kernelI13subtract_leftLj256ELj1ELb0EJPdS1_jEEvDpT3_ ; -- Begin function _Z6kernelI13subtract_leftLj256ELj1ELb0EJPdS1_jEEvDpT3_
	.globl	_Z6kernelI13subtract_leftLj256ELj1ELb0EJPdS1_jEEvDpT3_
	.p2align	8
	.type	_Z6kernelI13subtract_leftLj256ELj1ELb0EJPdS1_jEEvDpT3_,@function
_Z6kernelI13subtract_leftLj256ELj1ELb0EJPdS1_jEEvDpT3_: ; @_Z6kernelI13subtract_leftLj256ELj1ELb0EJPdS1_jEEvDpT3_
; %bb.0:
	s_load_dwordx4 s[0:3], s[4:5], 0x0
	s_load_dword s7, s[4:5], 0x10
	s_lshl_b32 s4, s6, 8
	s_mov_b32 s5, 0
	s_lshl_b64 s[4:5], s[4:5], 3
	s_waitcnt lgkmcnt(0)
	s_add_u32 s0, s0, s4
	s_addc_u32 s1, s1, s5
	v_lshlrev_b32_e32 v4, 3, v0
	global_load_dwordx2 v[2:3], v4, s[0:1]
	s_cmp_eq_u32 s7, 0
	s_cbranch_scc1 .LBB24_5
; %bb.1:
	v_cmp_ne_u32_e32 vcc, 0, v0
	v_add_u32_e32 v5, -8, v4
	s_branch .LBB24_3
.LBB24_2:                               ;   in Loop: Header=BB24_3 Depth=1
	s_or_b64 exec, exec, s[0:1]
	s_add_i32 s7, s7, -1
	v_add_f64 v[2:3], v[2:3], v[0:1]
	s_cmp_lg_u32 s7, 0
	s_barrier
	s_cbranch_scc0 .LBB24_5
.LBB24_3:                               ; =>This Inner Loop Header: Depth=1
	s_waitcnt vmcnt(0)
	v_pk_mov_b32 v[0:1], v[2:3], v[2:3] op_sel:[0,1]
	ds_write_b64 v4, v[2:3]
	s_waitcnt lgkmcnt(0)
	s_barrier
	s_and_saveexec_b64 s[0:1], vcc
	s_cbranch_execz .LBB24_2
; %bb.4:                                ;   in Loop: Header=BB24_3 Depth=1
	ds_read_b64 v[0:1], v5
	s_waitcnt lgkmcnt(0)
	v_add_f64 v[0:1], v[2:3], -v[0:1]
	s_branch .LBB24_2
.LBB24_5:
	s_add_u32 s0, s2, s4
	s_addc_u32 s1, s3, s5
	s_waitcnt vmcnt(0)
	global_store_dwordx2 v4, v[2:3], s[0:1]
	s_endpgm
	.section	.rodata,"a",@progbits
	.p2align	6, 0x0
	.amdhsa_kernel _Z6kernelI13subtract_leftLj256ELj1ELb0EJPdS1_jEEvDpT3_
		.amdhsa_group_segment_fixed_size 4096
		.amdhsa_private_segment_fixed_size 0
		.amdhsa_kernarg_size 20
		.amdhsa_user_sgpr_count 6
		.amdhsa_user_sgpr_private_segment_buffer 1
		.amdhsa_user_sgpr_dispatch_ptr 0
		.amdhsa_user_sgpr_queue_ptr 0
		.amdhsa_user_sgpr_kernarg_segment_ptr 1
		.amdhsa_user_sgpr_dispatch_id 0
		.amdhsa_user_sgpr_flat_scratch_init 0
		.amdhsa_user_sgpr_kernarg_preload_length 0
		.amdhsa_user_sgpr_kernarg_preload_offset 0
		.amdhsa_user_sgpr_private_segment_size 0
		.amdhsa_uses_dynamic_stack 0
		.amdhsa_system_sgpr_private_segment_wavefront_offset 0
		.amdhsa_system_sgpr_workgroup_id_x 1
		.amdhsa_system_sgpr_workgroup_id_y 0
		.amdhsa_system_sgpr_workgroup_id_z 0
		.amdhsa_system_sgpr_workgroup_info 0
		.amdhsa_system_vgpr_workitem_id 0
		.amdhsa_next_free_vgpr 6
		.amdhsa_next_free_sgpr 8
		.amdhsa_accum_offset 8
		.amdhsa_reserve_vcc 1
		.amdhsa_reserve_flat_scratch 0
		.amdhsa_float_round_mode_32 0
		.amdhsa_float_round_mode_16_64 0
		.amdhsa_float_denorm_mode_32 3
		.amdhsa_float_denorm_mode_16_64 3
		.amdhsa_dx10_clamp 1
		.amdhsa_ieee_mode 1
		.amdhsa_fp16_overflow 0
		.amdhsa_tg_split 0
		.amdhsa_exception_fp_ieee_invalid_op 0
		.amdhsa_exception_fp_denorm_src 0
		.amdhsa_exception_fp_ieee_div_zero 0
		.amdhsa_exception_fp_ieee_overflow 0
		.amdhsa_exception_fp_ieee_underflow 0
		.amdhsa_exception_fp_ieee_inexact 0
		.amdhsa_exception_int_div_zero 0
	.end_amdhsa_kernel
	.section	.text._Z6kernelI13subtract_leftLj256ELj1ELb0EJPdS1_jEEvDpT3_,"axG",@progbits,_Z6kernelI13subtract_leftLj256ELj1ELb0EJPdS1_jEEvDpT3_,comdat
.Lfunc_end24:
	.size	_Z6kernelI13subtract_leftLj256ELj1ELb0EJPdS1_jEEvDpT3_, .Lfunc_end24-_Z6kernelI13subtract_leftLj256ELj1ELb0EJPdS1_jEEvDpT3_
                                        ; -- End function
	.section	.AMDGPU.csdata,"",@progbits
; Kernel info:
; codeLenInByte = 184
; NumSgprs: 12
; NumVgprs: 6
; NumAgprs: 0
; TotalNumVgprs: 6
; ScratchSize: 0
; MemoryBound: 0
; FloatMode: 240
; IeeeMode: 1
; LDSByteSize: 4096 bytes/workgroup (compile time only)
; SGPRBlocks: 1
; VGPRBlocks: 0
; NumSGPRsForWavesPerEU: 12
; NumVGPRsForWavesPerEU: 6
; AccumOffset: 8
; Occupancy: 8
; WaveLimiterHint : 0
; COMPUTE_PGM_RSRC2:SCRATCH_EN: 0
; COMPUTE_PGM_RSRC2:USER_SGPR: 6
; COMPUTE_PGM_RSRC2:TRAP_HANDLER: 0
; COMPUTE_PGM_RSRC2:TGID_X_EN: 1
; COMPUTE_PGM_RSRC2:TGID_Y_EN: 0
; COMPUTE_PGM_RSRC2:TGID_Z_EN: 0
; COMPUTE_PGM_RSRC2:TIDIG_COMP_CNT: 0
; COMPUTE_PGM_RSRC3_GFX90A:ACCUM_OFFSET: 1
; COMPUTE_PGM_RSRC3_GFX90A:TG_SPLIT: 0
	.section	.text._Z6kernelI13subtract_leftLj256ELj3ELb0EJPdS1_jEEvDpT3_,"axG",@progbits,_Z6kernelI13subtract_leftLj256ELj3ELb0EJPdS1_jEEvDpT3_,comdat
	.protected	_Z6kernelI13subtract_leftLj256ELj3ELb0EJPdS1_jEEvDpT3_ ; -- Begin function _Z6kernelI13subtract_leftLj256ELj3ELb0EJPdS1_jEEvDpT3_
	.globl	_Z6kernelI13subtract_leftLj256ELj3ELb0EJPdS1_jEEvDpT3_
	.p2align	8
	.type	_Z6kernelI13subtract_leftLj256ELj3ELb0EJPdS1_jEEvDpT3_,@function
_Z6kernelI13subtract_leftLj256ELj3ELb0EJPdS1_jEEvDpT3_: ; @_Z6kernelI13subtract_leftLj256ELj3ELb0EJPdS1_jEEvDpT3_
; %bb.0:
	s_load_dwordx4 s[0:3], s[4:5], 0x0
	s_load_dword s7, s[4:5], 0x10
	s_mul_i32 s4, s6, 0x300
	s_mov_b32 s5, 0
	s_lshl_b64 s[4:5], s[4:5], 3
	s_waitcnt lgkmcnt(0)
	s_add_u32 s0, s0, s4
	s_addc_u32 s1, s1, s5
	v_lshlrev_b32_e32 v8, 3, v0
	v_mov_b32_e32 v1, s1
	v_add_co_u32_e32 v2, vcc, s0, v8
	v_addc_co_u32_e32 v1, vcc, 0, v1, vcc
	v_add_co_u32_e32 v10, vcc, 0x1000, v2
	v_addc_co_u32_e32 v11, vcc, 0, v1, vcc
	global_load_dwordx2 v[6:7], v8, s[0:1]
	global_load_dwordx2 v[4:5], v8, s[0:1] offset:2048
	global_load_dwordx2 v[2:3], v[10:11], off
	s_cmp_eq_u32 s7, 0
	s_cbranch_scc1 .LBB25_5
; %bb.1:
	v_cmp_ne_u32_e32 vcc, 0, v0
	v_add_u32_e32 v9, -8, v8
	s_branch .LBB25_3
.LBB25_2:                               ;   in Loop: Header=BB25_3 Depth=1
	s_or_b64 exec, exec, s[0:1]
	v_add_f64 v[10:11], v[2:3], -v[4:5]
	v_add_f64 v[12:13], v[4:5], -v[6:7]
	s_add_i32 s7, s7, -1
	v_add_f64 v[6:7], v[6:7], v[0:1]
	v_add_f64 v[4:5], v[4:5], v[12:13]
	;; [unrolled: 1-line block ×3, first 2 shown]
	s_cmp_lg_u32 s7, 0
	s_barrier
	s_cbranch_scc0 .LBB25_5
.LBB25_3:                               ; =>This Inner Loop Header: Depth=1
	s_waitcnt vmcnt(2)
	v_pk_mov_b32 v[0:1], v[6:7], v[6:7] op_sel:[0,1]
	s_waitcnt vmcnt(0)
	ds_write_b64 v8, v[2:3]
	s_waitcnt lgkmcnt(0)
	s_barrier
	s_and_saveexec_b64 s[0:1], vcc
	s_cbranch_execz .LBB25_2
; %bb.4:                                ;   in Loop: Header=BB25_3 Depth=1
	ds_read_b64 v[0:1], v9
	s_waitcnt lgkmcnt(0)
	v_add_f64 v[0:1], v[6:7], -v[0:1]
	s_branch .LBB25_2
.LBB25_5:
	s_add_u32 s0, s2, s4
	s_addc_u32 s1, s3, s5
	v_mov_b32_e32 v0, s1
	v_add_co_u32_e32 v1, vcc, s0, v8
	v_addc_co_u32_e32 v9, vcc, 0, v0, vcc
	v_add_co_u32_e32 v0, vcc, 0x1000, v1
	v_addc_co_u32_e32 v1, vcc, 0, v9, vcc
	s_waitcnt vmcnt(2)
	global_store_dwordx2 v8, v[6:7], s[0:1]
	s_waitcnt vmcnt(2)
	global_store_dwordx2 v8, v[4:5], s[0:1] offset:2048
	s_waitcnt vmcnt(2)
	global_store_dwordx2 v[0:1], v[2:3], off
	s_endpgm
	.section	.rodata,"a",@progbits
	.p2align	6, 0x0
	.amdhsa_kernel _Z6kernelI13subtract_leftLj256ELj3ELb0EJPdS1_jEEvDpT3_
		.amdhsa_group_segment_fixed_size 4096
		.amdhsa_private_segment_fixed_size 0
		.amdhsa_kernarg_size 20
		.amdhsa_user_sgpr_count 6
		.amdhsa_user_sgpr_private_segment_buffer 1
		.amdhsa_user_sgpr_dispatch_ptr 0
		.amdhsa_user_sgpr_queue_ptr 0
		.amdhsa_user_sgpr_kernarg_segment_ptr 1
		.amdhsa_user_sgpr_dispatch_id 0
		.amdhsa_user_sgpr_flat_scratch_init 0
		.amdhsa_user_sgpr_kernarg_preload_length 0
		.amdhsa_user_sgpr_kernarg_preload_offset 0
		.amdhsa_user_sgpr_private_segment_size 0
		.amdhsa_uses_dynamic_stack 0
		.amdhsa_system_sgpr_private_segment_wavefront_offset 0
		.amdhsa_system_sgpr_workgroup_id_x 1
		.amdhsa_system_sgpr_workgroup_id_y 0
		.amdhsa_system_sgpr_workgroup_id_z 0
		.amdhsa_system_sgpr_workgroup_info 0
		.amdhsa_system_vgpr_workitem_id 0
		.amdhsa_next_free_vgpr 14
		.amdhsa_next_free_sgpr 8
		.amdhsa_accum_offset 16
		.amdhsa_reserve_vcc 1
		.amdhsa_reserve_flat_scratch 0
		.amdhsa_float_round_mode_32 0
		.amdhsa_float_round_mode_16_64 0
		.amdhsa_float_denorm_mode_32 3
		.amdhsa_float_denorm_mode_16_64 3
		.amdhsa_dx10_clamp 1
		.amdhsa_ieee_mode 1
		.amdhsa_fp16_overflow 0
		.amdhsa_tg_split 0
		.amdhsa_exception_fp_ieee_invalid_op 0
		.amdhsa_exception_fp_denorm_src 0
		.amdhsa_exception_fp_ieee_div_zero 0
		.amdhsa_exception_fp_ieee_overflow 0
		.amdhsa_exception_fp_ieee_underflow 0
		.amdhsa_exception_fp_ieee_inexact 0
		.amdhsa_exception_int_div_zero 0
	.end_amdhsa_kernel
	.section	.text._Z6kernelI13subtract_leftLj256ELj3ELb0EJPdS1_jEEvDpT3_,"axG",@progbits,_Z6kernelI13subtract_leftLj256ELj3ELb0EJPdS1_jEEvDpT3_,comdat
.Lfunc_end25:
	.size	_Z6kernelI13subtract_leftLj256ELj3ELb0EJPdS1_jEEvDpT3_, .Lfunc_end25-_Z6kernelI13subtract_leftLj256ELj3ELb0EJPdS1_jEEvDpT3_
                                        ; -- End function
	.section	.AMDGPU.csdata,"",@progbits
; Kernel info:
; codeLenInByte = 312
; NumSgprs: 12
; NumVgprs: 14
; NumAgprs: 0
; TotalNumVgprs: 14
; ScratchSize: 0
; MemoryBound: 0
; FloatMode: 240
; IeeeMode: 1
; LDSByteSize: 4096 bytes/workgroup (compile time only)
; SGPRBlocks: 1
; VGPRBlocks: 1
; NumSGPRsForWavesPerEU: 12
; NumVGPRsForWavesPerEU: 14
; AccumOffset: 16
; Occupancy: 8
; WaveLimiterHint : 1
; COMPUTE_PGM_RSRC2:SCRATCH_EN: 0
; COMPUTE_PGM_RSRC2:USER_SGPR: 6
; COMPUTE_PGM_RSRC2:TRAP_HANDLER: 0
; COMPUTE_PGM_RSRC2:TGID_X_EN: 1
; COMPUTE_PGM_RSRC2:TGID_Y_EN: 0
; COMPUTE_PGM_RSRC2:TGID_Z_EN: 0
; COMPUTE_PGM_RSRC2:TIDIG_COMP_CNT: 0
; COMPUTE_PGM_RSRC3_GFX90A:ACCUM_OFFSET: 3
; COMPUTE_PGM_RSRC3_GFX90A:TG_SPLIT: 0
	.section	.text._Z6kernelI13subtract_leftLj256ELj4ELb0EJPdS1_jEEvDpT3_,"axG",@progbits,_Z6kernelI13subtract_leftLj256ELj4ELb0EJPdS1_jEEvDpT3_,comdat
	.protected	_Z6kernelI13subtract_leftLj256ELj4ELb0EJPdS1_jEEvDpT3_ ; -- Begin function _Z6kernelI13subtract_leftLj256ELj4ELb0EJPdS1_jEEvDpT3_
	.globl	_Z6kernelI13subtract_leftLj256ELj4ELb0EJPdS1_jEEvDpT3_
	.p2align	8
	.type	_Z6kernelI13subtract_leftLj256ELj4ELb0EJPdS1_jEEvDpT3_,@function
_Z6kernelI13subtract_leftLj256ELj4ELb0EJPdS1_jEEvDpT3_: ; @_Z6kernelI13subtract_leftLj256ELj4ELb0EJPdS1_jEEvDpT3_
; %bb.0:
	s_load_dwordx4 s[0:3], s[4:5], 0x0
	s_load_dword s7, s[4:5], 0x10
	s_lshl_b32 s4, s6, 10
	s_mov_b32 s5, 0
	s_lshl_b64 s[4:5], s[4:5], 3
	s_waitcnt lgkmcnt(0)
	s_add_u32 s0, s0, s4
	s_addc_u32 s1, s1, s5
	v_lshlrev_b32_e32 v10, 3, v0
	v_mov_b32_e32 v1, s1
	v_add_co_u32_e32 v2, vcc, s0, v10
	v_addc_co_u32_e32 v1, vcc, 0, v1, vcc
	v_add_co_u32_e32 v12, vcc, 0x1000, v2
	v_addc_co_u32_e32 v13, vcc, 0, v1, vcc
	global_load_dwordx2 v[8:9], v10, s[0:1]
	global_load_dwordx2 v[6:7], v10, s[0:1] offset:2048
	global_load_dwordx2 v[4:5], v[12:13], off
	global_load_dwordx2 v[2:3], v[12:13], off offset:2048
	s_cmp_eq_u32 s7, 0
	s_cbranch_scc1 .LBB26_5
; %bb.1:
	v_cmp_ne_u32_e32 vcc, 0, v0
	v_add_u32_e32 v11, -8, v10
	s_branch .LBB26_3
.LBB26_2:                               ;   in Loop: Header=BB26_3 Depth=1
	s_or_b64 exec, exec, s[0:1]
	v_add_f64 v[12:13], v[2:3], -v[4:5]
	v_add_f64 v[14:15], v[4:5], -v[6:7]
	;; [unrolled: 1-line block ×3, first 2 shown]
	s_add_i32 s7, s7, -1
	v_add_f64 v[8:9], v[8:9], v[0:1]
	v_add_f64 v[6:7], v[6:7], v[16:17]
	;; [unrolled: 1-line block ×4, first 2 shown]
	s_cmp_lg_u32 s7, 0
	s_barrier
	s_cbranch_scc0 .LBB26_5
.LBB26_3:                               ; =>This Inner Loop Header: Depth=1
	s_waitcnt vmcnt(3)
	v_pk_mov_b32 v[0:1], v[8:9], v[8:9] op_sel:[0,1]
	s_waitcnt vmcnt(0)
	ds_write_b64 v10, v[2:3]
	s_waitcnt lgkmcnt(0)
	s_barrier
	s_and_saveexec_b64 s[0:1], vcc
	s_cbranch_execz .LBB26_2
; %bb.4:                                ;   in Loop: Header=BB26_3 Depth=1
	ds_read_b64 v[0:1], v11
	s_waitcnt lgkmcnt(0)
	v_add_f64 v[0:1], v[8:9], -v[0:1]
	s_branch .LBB26_2
.LBB26_5:
	s_add_u32 s0, s2, s4
	s_addc_u32 s1, s3, s5
	v_mov_b32_e32 v0, s1
	v_add_co_u32_e32 v1, vcc, s0, v10
	v_addc_co_u32_e32 v11, vcc, 0, v0, vcc
	v_add_co_u32_e32 v0, vcc, 0x1000, v1
	v_addc_co_u32_e32 v1, vcc, 0, v11, vcc
	s_waitcnt vmcnt(3)
	global_store_dwordx2 v10, v[8:9], s[0:1]
	s_waitcnt vmcnt(3)
	global_store_dwordx2 v10, v[6:7], s[0:1] offset:2048
	s_waitcnt vmcnt(3)
	global_store_dwordx2 v[0:1], v[4:5], off
	s_waitcnt vmcnt(3)
	global_store_dwordx2 v[0:1], v[2:3], off offset:2048
	s_endpgm
	.section	.rodata,"a",@progbits
	.p2align	6, 0x0
	.amdhsa_kernel _Z6kernelI13subtract_leftLj256ELj4ELb0EJPdS1_jEEvDpT3_
		.amdhsa_group_segment_fixed_size 4096
		.amdhsa_private_segment_fixed_size 0
		.amdhsa_kernarg_size 20
		.amdhsa_user_sgpr_count 6
		.amdhsa_user_sgpr_private_segment_buffer 1
		.amdhsa_user_sgpr_dispatch_ptr 0
		.amdhsa_user_sgpr_queue_ptr 0
		.amdhsa_user_sgpr_kernarg_segment_ptr 1
		.amdhsa_user_sgpr_dispatch_id 0
		.amdhsa_user_sgpr_flat_scratch_init 0
		.amdhsa_user_sgpr_kernarg_preload_length 0
		.amdhsa_user_sgpr_kernarg_preload_offset 0
		.amdhsa_user_sgpr_private_segment_size 0
		.amdhsa_uses_dynamic_stack 0
		.amdhsa_system_sgpr_private_segment_wavefront_offset 0
		.amdhsa_system_sgpr_workgroup_id_x 1
		.amdhsa_system_sgpr_workgroup_id_y 0
		.amdhsa_system_sgpr_workgroup_id_z 0
		.amdhsa_system_sgpr_workgroup_info 0
		.amdhsa_system_vgpr_workitem_id 0
		.amdhsa_next_free_vgpr 18
		.amdhsa_next_free_sgpr 8
		.amdhsa_accum_offset 20
		.amdhsa_reserve_vcc 1
		.amdhsa_reserve_flat_scratch 0
		.amdhsa_float_round_mode_32 0
		.amdhsa_float_round_mode_16_64 0
		.amdhsa_float_denorm_mode_32 3
		.amdhsa_float_denorm_mode_16_64 3
		.amdhsa_dx10_clamp 1
		.amdhsa_ieee_mode 1
		.amdhsa_fp16_overflow 0
		.amdhsa_tg_split 0
		.amdhsa_exception_fp_ieee_invalid_op 0
		.amdhsa_exception_fp_denorm_src 0
		.amdhsa_exception_fp_ieee_div_zero 0
		.amdhsa_exception_fp_ieee_overflow 0
		.amdhsa_exception_fp_ieee_underflow 0
		.amdhsa_exception_fp_ieee_inexact 0
		.amdhsa_exception_int_div_zero 0
	.end_amdhsa_kernel
	.section	.text._Z6kernelI13subtract_leftLj256ELj4ELb0EJPdS1_jEEvDpT3_,"axG",@progbits,_Z6kernelI13subtract_leftLj256ELj4ELb0EJPdS1_jEEvDpT3_,comdat
.Lfunc_end26:
	.size	_Z6kernelI13subtract_leftLj256ELj4ELb0EJPdS1_jEEvDpT3_, .Lfunc_end26-_Z6kernelI13subtract_leftLj256ELj4ELb0EJPdS1_jEEvDpT3_
                                        ; -- End function
	.section	.AMDGPU.csdata,"",@progbits
; Kernel info:
; codeLenInByte = 344
; NumSgprs: 12
; NumVgprs: 18
; NumAgprs: 0
; TotalNumVgprs: 18
; ScratchSize: 0
; MemoryBound: 0
; FloatMode: 240
; IeeeMode: 1
; LDSByteSize: 4096 bytes/workgroup (compile time only)
; SGPRBlocks: 1
; VGPRBlocks: 2
; NumSGPRsForWavesPerEU: 12
; NumVGPRsForWavesPerEU: 18
; AccumOffset: 20
; Occupancy: 8
; WaveLimiterHint : 1
; COMPUTE_PGM_RSRC2:SCRATCH_EN: 0
; COMPUTE_PGM_RSRC2:USER_SGPR: 6
; COMPUTE_PGM_RSRC2:TRAP_HANDLER: 0
; COMPUTE_PGM_RSRC2:TGID_X_EN: 1
; COMPUTE_PGM_RSRC2:TGID_Y_EN: 0
; COMPUTE_PGM_RSRC2:TGID_Z_EN: 0
; COMPUTE_PGM_RSRC2:TIDIG_COMP_CNT: 0
; COMPUTE_PGM_RSRC3_GFX90A:ACCUM_OFFSET: 4
; COMPUTE_PGM_RSRC3_GFX90A:TG_SPLIT: 0
	.section	.text._Z6kernelI13subtract_leftLj256ELj8ELb0EJPdS1_jEEvDpT3_,"axG",@progbits,_Z6kernelI13subtract_leftLj256ELj8ELb0EJPdS1_jEEvDpT3_,comdat
	.protected	_Z6kernelI13subtract_leftLj256ELj8ELb0EJPdS1_jEEvDpT3_ ; -- Begin function _Z6kernelI13subtract_leftLj256ELj8ELb0EJPdS1_jEEvDpT3_
	.globl	_Z6kernelI13subtract_leftLj256ELj8ELb0EJPdS1_jEEvDpT3_
	.p2align	8
	.type	_Z6kernelI13subtract_leftLj256ELj8ELb0EJPdS1_jEEvDpT3_,@function
_Z6kernelI13subtract_leftLj256ELj8ELb0EJPdS1_jEEvDpT3_: ; @_Z6kernelI13subtract_leftLj256ELj8ELb0EJPdS1_jEEvDpT3_
; %bb.0:
	s_load_dwordx4 s[0:3], s[4:5], 0x0
	s_load_dword s7, s[4:5], 0x10
	s_lshl_b32 s4, s6, 11
	s_mov_b32 s5, 0
	s_lshl_b64 s[4:5], s[4:5], 3
	s_waitcnt lgkmcnt(0)
	s_add_u32 s0, s0, s4
	s_addc_u32 s1, s1, s5
	v_lshlrev_b32_e32 v18, 3, v0
	v_mov_b32_e32 v1, s1
	v_add_co_u32_e32 v12, vcc, s0, v18
	v_addc_co_u32_e32 v1, vcc, 0, v1, vcc
	s_movk_i32 s6, 0x1000
	v_add_co_u32_e32 v10, vcc, s6, v12
	v_addc_co_u32_e32 v11, vcc, 0, v1, vcc
	v_add_co_u32_e32 v20, vcc, 0x2000, v12
	v_addc_co_u32_e32 v21, vcc, 0, v1, vcc
	v_add_co_u32_e32 v22, vcc, 0x3000, v12
	global_load_dwordx2 v[8:9], v18, s[0:1]
	global_load_dwordx2 v[6:7], v18, s[0:1] offset:2048
	global_load_dwordx2 v[4:5], v[10:11], off
	global_load_dwordx2 v[2:3], v[10:11], off offset:2048
	v_addc_co_u32_e32 v23, vcc, 0, v1, vcc
	global_load_dwordx2 v[16:17], v[20:21], off
	global_load_dwordx2 v[14:15], v[20:21], off offset:2048
	global_load_dwordx2 v[12:13], v[22:23], off
	global_load_dwordx2 v[10:11], v[22:23], off offset:2048
	s_cmp_eq_u32 s7, 0
	s_cbranch_scc1 .LBB27_5
; %bb.1:
	v_cmp_ne_u32_e32 vcc, 0, v0
	v_add_u32_e32 v19, -8, v18
	s_branch .LBB27_3
.LBB27_2:                               ;   in Loop: Header=BB27_3 Depth=1
	s_or_b64 exec, exec, s[0:1]
	v_add_f64 v[20:21], v[10:11], -v[12:13]
	v_add_f64 v[22:23], v[12:13], -v[14:15]
	;; [unrolled: 1-line block ×7, first 2 shown]
	s_add_i32 s7, s7, -1
	v_add_f64 v[8:9], v[8:9], v[0:1]
	v_add_f64 v[6:7], v[6:7], v[32:33]
	;; [unrolled: 1-line block ×8, first 2 shown]
	s_cmp_lg_u32 s7, 0
	s_barrier
	s_cbranch_scc0 .LBB27_5
.LBB27_3:                               ; =>This Inner Loop Header: Depth=1
	s_waitcnt vmcnt(7)
	v_pk_mov_b32 v[0:1], v[8:9], v[8:9] op_sel:[0,1]
	s_waitcnt vmcnt(0)
	ds_write_b64 v18, v[10:11]
	s_waitcnt lgkmcnt(0)
	s_barrier
	s_and_saveexec_b64 s[0:1], vcc
	s_cbranch_execz .LBB27_2
; %bb.4:                                ;   in Loop: Header=BB27_3 Depth=1
	ds_read_b64 v[0:1], v19
	s_waitcnt lgkmcnt(0)
	v_add_f64 v[0:1], v[8:9], -v[0:1]
	s_branch .LBB27_2
.LBB27_5:
	s_add_u32 s0, s2, s4
	s_addc_u32 s1, s3, s5
	v_mov_b32_e32 v0, s1
	v_add_co_u32_e32 v19, vcc, s0, v18
	v_addc_co_u32_e32 v20, vcc, 0, v0, vcc
	v_add_co_u32_e32 v0, vcc, 0x1000, v19
	v_addc_co_u32_e32 v1, vcc, 0, v20, vcc
	s_waitcnt vmcnt(7)
	global_store_dwordx2 v18, v[8:9], s[0:1]
	s_waitcnt vmcnt(7)
	global_store_dwordx2 v18, v[6:7], s[0:1] offset:2048
	s_waitcnt vmcnt(7)
	global_store_dwordx2 v[0:1], v[4:5], off
	s_waitcnt vmcnt(7)
	global_store_dwordx2 v[0:1], v[2:3], off offset:2048
	v_add_co_u32_e32 v0, vcc, 0x2000, v19
	v_addc_co_u32_e32 v1, vcc, 0, v20, vcc
	s_waitcnt vmcnt(7)
	global_store_dwordx2 v[0:1], v[16:17], off
	s_waitcnt vmcnt(7)
	global_store_dwordx2 v[0:1], v[14:15], off offset:2048
	v_add_co_u32_e32 v0, vcc, 0x3000, v19
	v_addc_co_u32_e32 v1, vcc, 0, v20, vcc
	s_waitcnt vmcnt(7)
	global_store_dwordx2 v[0:1], v[12:13], off
	s_waitcnt vmcnt(7)
	global_store_dwordx2 v[0:1], v[10:11], off offset:2048
	s_endpgm
	.section	.rodata,"a",@progbits
	.p2align	6, 0x0
	.amdhsa_kernel _Z6kernelI13subtract_leftLj256ELj8ELb0EJPdS1_jEEvDpT3_
		.amdhsa_group_segment_fixed_size 4096
		.amdhsa_private_segment_fixed_size 0
		.amdhsa_kernarg_size 20
		.amdhsa_user_sgpr_count 6
		.amdhsa_user_sgpr_private_segment_buffer 1
		.amdhsa_user_sgpr_dispatch_ptr 0
		.amdhsa_user_sgpr_queue_ptr 0
		.amdhsa_user_sgpr_kernarg_segment_ptr 1
		.amdhsa_user_sgpr_dispatch_id 0
		.amdhsa_user_sgpr_flat_scratch_init 0
		.amdhsa_user_sgpr_kernarg_preload_length 0
		.amdhsa_user_sgpr_kernarg_preload_offset 0
		.amdhsa_user_sgpr_private_segment_size 0
		.amdhsa_uses_dynamic_stack 0
		.amdhsa_system_sgpr_private_segment_wavefront_offset 0
		.amdhsa_system_sgpr_workgroup_id_x 1
		.amdhsa_system_sgpr_workgroup_id_y 0
		.amdhsa_system_sgpr_workgroup_id_z 0
		.amdhsa_system_sgpr_workgroup_info 0
		.amdhsa_system_vgpr_workitem_id 0
		.amdhsa_next_free_vgpr 34
		.amdhsa_next_free_sgpr 8
		.amdhsa_accum_offset 36
		.amdhsa_reserve_vcc 1
		.amdhsa_reserve_flat_scratch 0
		.amdhsa_float_round_mode_32 0
		.amdhsa_float_round_mode_16_64 0
		.amdhsa_float_denorm_mode_32 3
		.amdhsa_float_denorm_mode_16_64 3
		.amdhsa_dx10_clamp 1
		.amdhsa_ieee_mode 1
		.amdhsa_fp16_overflow 0
		.amdhsa_tg_split 0
		.amdhsa_exception_fp_ieee_invalid_op 0
		.amdhsa_exception_fp_denorm_src 0
		.amdhsa_exception_fp_ieee_div_zero 0
		.amdhsa_exception_fp_ieee_overflow 0
		.amdhsa_exception_fp_ieee_underflow 0
		.amdhsa_exception_fp_ieee_inexact 0
		.amdhsa_exception_int_div_zero 0
	.end_amdhsa_kernel
	.section	.text._Z6kernelI13subtract_leftLj256ELj8ELb0EJPdS1_jEEvDpT3_,"axG",@progbits,_Z6kernelI13subtract_leftLj256ELj8ELb0EJPdS1_jEEvDpT3_,comdat
.Lfunc_end27:
	.size	_Z6kernelI13subtract_leftLj256ELj8ELb0EJPdS1_jEEvDpT3_, .Lfunc_end27-_Z6kernelI13subtract_leftLj256ELj8ELb0EJPdS1_jEEvDpT3_
                                        ; -- End function
	.section	.AMDGPU.csdata,"",@progbits
; Kernel info:
; codeLenInByte = 536
; NumSgprs: 12
; NumVgprs: 34
; NumAgprs: 0
; TotalNumVgprs: 34
; ScratchSize: 0
; MemoryBound: 0
; FloatMode: 240
; IeeeMode: 1
; LDSByteSize: 4096 bytes/workgroup (compile time only)
; SGPRBlocks: 1
; VGPRBlocks: 4
; NumSGPRsForWavesPerEU: 12
; NumVGPRsForWavesPerEU: 34
; AccumOffset: 36
; Occupancy: 8
; WaveLimiterHint : 1
; COMPUTE_PGM_RSRC2:SCRATCH_EN: 0
; COMPUTE_PGM_RSRC2:USER_SGPR: 6
; COMPUTE_PGM_RSRC2:TRAP_HANDLER: 0
; COMPUTE_PGM_RSRC2:TGID_X_EN: 1
; COMPUTE_PGM_RSRC2:TGID_Y_EN: 0
; COMPUTE_PGM_RSRC2:TGID_Z_EN: 0
; COMPUTE_PGM_RSRC2:TIDIG_COMP_CNT: 0
; COMPUTE_PGM_RSRC3_GFX90A:ACCUM_OFFSET: 8
; COMPUTE_PGM_RSRC3_GFX90A:TG_SPLIT: 0
	.section	.text._Z6kernelI13subtract_leftLj256ELj16ELb0EJPdS1_jEEvDpT3_,"axG",@progbits,_Z6kernelI13subtract_leftLj256ELj16ELb0EJPdS1_jEEvDpT3_,comdat
	.protected	_Z6kernelI13subtract_leftLj256ELj16ELb0EJPdS1_jEEvDpT3_ ; -- Begin function _Z6kernelI13subtract_leftLj256ELj16ELb0EJPdS1_jEEvDpT3_
	.globl	_Z6kernelI13subtract_leftLj256ELj16ELb0EJPdS1_jEEvDpT3_
	.p2align	8
	.type	_Z6kernelI13subtract_leftLj256ELj16ELb0EJPdS1_jEEvDpT3_,@function
_Z6kernelI13subtract_leftLj256ELj16ELb0EJPdS1_jEEvDpT3_: ; @_Z6kernelI13subtract_leftLj256ELj16ELb0EJPdS1_jEEvDpT3_
; %bb.0:
	s_load_dwordx4 s[0:3], s[4:5], 0x0
	s_load_dword s7, s[4:5], 0x10
	s_lshl_b32 s4, s6, 12
	s_mov_b32 s5, 0
	s_lshl_b64 s[4:5], s[4:5], 3
	s_waitcnt lgkmcnt(0)
	s_add_u32 s0, s0, s4
	s_addc_u32 s1, s1, s5
	v_lshlrev_b32_e32 v34, 3, v0
	v_mov_b32_e32 v1, s1
	v_add_co_u32_e32 v32, vcc, s0, v34
	v_addc_co_u32_e32 v1, vcc, 0, v1, vcc
	s_movk_i32 s6, 0x1000
	v_add_co_u32_e32 v12, vcc, s6, v32
	v_addc_co_u32_e32 v13, vcc, 0, v1, vcc
	s_movk_i32 s6, 0x2000
	v_add_co_u32_e32 v36, vcc, s6, v32
	v_addc_co_u32_e32 v37, vcc, 0, v1, vcc
	s_movk_i32 s6, 0x3000
	v_add_co_u32_e32 v14, vcc, s6, v32
	v_addc_co_u32_e32 v15, vcc, 0, v1, vcc
	s_movk_i32 s6, 0x4000
	v_add_co_u32_e32 v16, vcc, s6, v32
	global_load_dwordx2 v[2:3], v[36:37], off
	v_addc_co_u32_e32 v17, vcc, 0, v1, vcc
	global_load_dwordx2 v[30:31], v34, s[0:1]
	global_load_dwordx2 v[28:29], v34, s[0:1] offset:2048
	global_load_dwordx2 v[26:27], v[12:13], off offset:2048
	global_load_dwordx2 v[8:9], v[14:15], off offset:2048
	;; [unrolled: 1-line block ×3, first 2 shown]
	global_load_dwordx2 v[10:11], v[16:17], off offset:-4096
	global_load_dwordx2 v[6:7], v[16:17], off
	global_load_dwordx2 v[4:5], v[16:17], off offset:2048
	s_movk_i32 s0, 0x5000
	v_add_co_u32_e32 v16, vcc, s0, v32
	v_addc_co_u32_e32 v17, vcc, 0, v1, vcc
	v_add_co_u32_e32 v18, vcc, 0x6000, v32
	v_addc_co_u32_e32 v19, vcc, 0, v1, vcc
	v_add_co_u32_e32 v38, vcc, 0x7000, v32
	global_load_dwordx2 v[22:23], v[16:17], off
	global_load_dwordx2 v[20:21], v[16:17], off offset:2048
	global_load_dwordx2 v[14:15], v[18:19], off
	global_load_dwordx2 v[12:13], v[18:19], off offset:2048
	v_addc_co_u32_e32 v39, vcc, 0, v1, vcc
	global_load_dwordx2 v[16:17], v[38:39], off
	global_load_dwordx2 v[32:33], v[36:37], off offset:-4096
	global_load_dwordx2 v[18:19], v[38:39], off offset:2048
	s_cmp_eq_u32 s7, 0
	s_cbranch_scc1 .LBB28_5
; %bb.1:
	v_cmp_ne_u32_e32 vcc, 0, v0
	v_add_u32_e32 v35, -8, v34
	s_branch .LBB28_3
.LBB28_2:                               ;   in Loop: Header=BB28_3 Depth=1
	s_or_b64 exec, exec, s[0:1]
	v_add_f64 v[60:61], v[28:29], -v[30:31]
	v_add_f64 v[36:37], v[18:19], -v[16:17]
	;; [unrolled: 1-line block ×13, first 2 shown]
	v_add_f64 v[30:31], v[30:31], v[0:1]
	v_add_f64 v[0:1], v[32:33], -v[28:29]
	v_add_f64 v[28:29], v[28:29], v[60:61]
	v_add_f64 v[60:61], v[26:27], -v[32:33]
	s_add_i32 s7, s7, -1
	v_add_f64 v[32:33], v[32:33], v[0:1]
	v_add_f64 v[26:27], v[26:27], v[60:61]
	;; [unrolled: 1-line block ×14, first 2 shown]
	s_cmp_lg_u32 s7, 0
	s_barrier
	s_cbranch_scc0 .LBB28_5
.LBB28_3:                               ; =>This Inner Loop Header: Depth=1
	s_waitcnt vmcnt(14)
	v_pk_mov_b32 v[0:1], v[30:31], v[30:31] op_sel:[0,1]
	s_waitcnt vmcnt(0)
	ds_write_b64 v34, v[18:19]
	s_waitcnt lgkmcnt(0)
	s_barrier
	s_and_saveexec_b64 s[0:1], vcc
	s_cbranch_execz .LBB28_2
; %bb.4:                                ;   in Loop: Header=BB28_3 Depth=1
	ds_read_b64 v[0:1], v35
	s_waitcnt lgkmcnt(0)
	v_add_f64 v[0:1], v[30:31], -v[0:1]
	s_branch .LBB28_2
.LBB28_5:
	s_add_u32 s0, s2, s4
	s_addc_u32 s1, s3, s5
	v_mov_b32_e32 v0, s1
	v_add_co_u32_e32 v35, vcc, s0, v34
	v_addc_co_u32_e32 v36, vcc, 0, v0, vcc
	v_add_co_u32_e32 v0, vcc, 0x1000, v35
	v_addc_co_u32_e32 v1, vcc, 0, v36, vcc
	s_waitcnt vmcnt(14)
	global_store_dwordx2 v34, v[30:31], s[0:1]
	s_waitcnt vmcnt(14)
	global_store_dwordx2 v34, v[28:29], s[0:1] offset:2048
	s_waitcnt vmcnt(3)
	global_store_dwordx2 v[0:1], v[32:33], off
	global_store_dwordx2 v[0:1], v[26:27], off offset:2048
	v_add_co_u32_e32 v0, vcc, 0x2000, v35
	v_addc_co_u32_e32 v1, vcc, 0, v36, vcc
	global_store_dwordx2 v[0:1], v[2:3], off
	global_store_dwordx2 v[0:1], v[24:25], off offset:2048
	v_add_co_u32_e32 v0, vcc, 0x3000, v35
	v_addc_co_u32_e32 v1, vcc, 0, v36, vcc
	;; [unrolled: 4-line block ×6, first 2 shown]
	global_store_dwordx2 v[0:1], v[16:17], off
	s_waitcnt vmcnt(15)
	global_store_dwordx2 v[0:1], v[18:19], off offset:2048
	s_endpgm
	.section	.rodata,"a",@progbits
	.p2align	6, 0x0
	.amdhsa_kernel _Z6kernelI13subtract_leftLj256ELj16ELb0EJPdS1_jEEvDpT3_
		.amdhsa_group_segment_fixed_size 4096
		.amdhsa_private_segment_fixed_size 0
		.amdhsa_kernarg_size 20
		.amdhsa_user_sgpr_count 6
		.amdhsa_user_sgpr_private_segment_buffer 1
		.amdhsa_user_sgpr_dispatch_ptr 0
		.amdhsa_user_sgpr_queue_ptr 0
		.amdhsa_user_sgpr_kernarg_segment_ptr 1
		.amdhsa_user_sgpr_dispatch_id 0
		.amdhsa_user_sgpr_flat_scratch_init 0
		.amdhsa_user_sgpr_kernarg_preload_length 0
		.amdhsa_user_sgpr_kernarg_preload_offset 0
		.amdhsa_user_sgpr_private_segment_size 0
		.amdhsa_uses_dynamic_stack 0
		.amdhsa_system_sgpr_private_segment_wavefront_offset 0
		.amdhsa_system_sgpr_workgroup_id_x 1
		.amdhsa_system_sgpr_workgroup_id_y 0
		.amdhsa_system_sgpr_workgroup_id_z 0
		.amdhsa_system_sgpr_workgroup_info 0
		.amdhsa_system_vgpr_workitem_id 0
		.amdhsa_next_free_vgpr 62
		.amdhsa_next_free_sgpr 8
		.amdhsa_accum_offset 64
		.amdhsa_reserve_vcc 1
		.amdhsa_reserve_flat_scratch 0
		.amdhsa_float_round_mode_32 0
		.amdhsa_float_round_mode_16_64 0
		.amdhsa_float_denorm_mode_32 3
		.amdhsa_float_denorm_mode_16_64 3
		.amdhsa_dx10_clamp 1
		.amdhsa_ieee_mode 1
		.amdhsa_fp16_overflow 0
		.amdhsa_tg_split 0
		.amdhsa_exception_fp_ieee_invalid_op 0
		.amdhsa_exception_fp_denorm_src 0
		.amdhsa_exception_fp_ieee_div_zero 0
		.amdhsa_exception_fp_ieee_overflow 0
		.amdhsa_exception_fp_ieee_underflow 0
		.amdhsa_exception_fp_ieee_inexact 0
		.amdhsa_exception_int_div_zero 0
	.end_amdhsa_kernel
	.section	.text._Z6kernelI13subtract_leftLj256ELj16ELb0EJPdS1_jEEvDpT3_,"axG",@progbits,_Z6kernelI13subtract_leftLj256ELj16ELb0EJPdS1_jEEvDpT3_,comdat
.Lfunc_end28:
	.size	_Z6kernelI13subtract_leftLj256ELj16ELb0EJPdS1_jEEvDpT3_, .Lfunc_end28-_Z6kernelI13subtract_leftLj256ELj16ELb0EJPdS1_jEEvDpT3_
                                        ; -- End function
	.section	.AMDGPU.csdata,"",@progbits
; Kernel info:
; codeLenInByte = 872
; NumSgprs: 12
; NumVgprs: 62
; NumAgprs: 0
; TotalNumVgprs: 62
; ScratchSize: 0
; MemoryBound: 0
; FloatMode: 240
; IeeeMode: 1
; LDSByteSize: 4096 bytes/workgroup (compile time only)
; SGPRBlocks: 1
; VGPRBlocks: 7
; NumSGPRsForWavesPerEU: 12
; NumVGPRsForWavesPerEU: 62
; AccumOffset: 64
; Occupancy: 8
; WaveLimiterHint : 1
; COMPUTE_PGM_RSRC2:SCRATCH_EN: 0
; COMPUTE_PGM_RSRC2:USER_SGPR: 6
; COMPUTE_PGM_RSRC2:TRAP_HANDLER: 0
; COMPUTE_PGM_RSRC2:TGID_X_EN: 1
; COMPUTE_PGM_RSRC2:TGID_Y_EN: 0
; COMPUTE_PGM_RSRC2:TGID_Z_EN: 0
; COMPUTE_PGM_RSRC2:TIDIG_COMP_CNT: 0
; COMPUTE_PGM_RSRC3_GFX90A:ACCUM_OFFSET: 15
; COMPUTE_PGM_RSRC3_GFX90A:TG_SPLIT: 0
	.section	.text._Z6kernelI13subtract_leftLj256ELj32ELb0EJPdS1_jEEvDpT3_,"axG",@progbits,_Z6kernelI13subtract_leftLj256ELj32ELb0EJPdS1_jEEvDpT3_,comdat
	.protected	_Z6kernelI13subtract_leftLj256ELj32ELb0EJPdS1_jEEvDpT3_ ; -- Begin function _Z6kernelI13subtract_leftLj256ELj32ELb0EJPdS1_jEEvDpT3_
	.globl	_Z6kernelI13subtract_leftLj256ELj32ELb0EJPdS1_jEEvDpT3_
	.p2align	8
	.type	_Z6kernelI13subtract_leftLj256ELj32ELb0EJPdS1_jEEvDpT3_,@function
_Z6kernelI13subtract_leftLj256ELj32ELb0EJPdS1_jEEvDpT3_: ; @_Z6kernelI13subtract_leftLj256ELj32ELb0EJPdS1_jEEvDpT3_
; %bb.0:
	s_load_dwordx4 s[0:3], s[4:5], 0x0
	s_load_dword s7, s[4:5], 0x10
	s_lshl_b32 s4, s6, 13
	s_mov_b32 s5, 0
	s_lshl_b64 s[4:5], s[4:5], 3
	s_waitcnt lgkmcnt(0)
	s_add_u32 s0, s0, s4
	s_addc_u32 s1, s1, s5
	v_lshlrev_b32_e32 v66, 3, v0
	v_mov_b32_e32 v1, s1
	v_add_co_u32_e32 v52, vcc, s0, v66
	v_addc_co_u32_e32 v1, vcc, 0, v1, vcc
	s_movk_i32 s6, 0x1000
	v_add_co_u32_e32 v68, vcc, s6, v52
	v_addc_co_u32_e32 v69, vcc, 0, v1, vcc
	s_movk_i32 s6, 0x2000
	;; [unrolled: 3-line block ×6, first 2 shown]
	global_load_dwordx2 v[6:7], v[8:9], off offset:2048
	global_load_dwordx2 v[4:5], v[72:73], off
	global_load_dwordx2 v[2:3], v[72:73], off offset:2048
	v_add_co_u32_e32 v8, vcc, s6, v52
	v_addc_co_u32_e32 v9, vcc, 0, v1, vcc
	s_movk_i32 s6, 0x7000
	v_add_co_u32_e32 v38, vcc, s6, v52
	v_addc_co_u32_e32 v39, vcc, 0, v1, vcc
	s_mov_b32 s6, 0x8000
	v_add_co_u32_e32 v18, vcc, s6, v52
	v_addc_co_u32_e32 v19, vcc, 0, v1, vcc
	s_mov_b32 s6, 0x9000
	;; [unrolled: 3-line block ×6, first 2 shown]
	v_add_co_u32_e32 v74, vcc, s6, v52
	v_addc_co_u32_e32 v75, vcc, 0, v1, vcc
	v_add_co_u32_e32 v76, vcc, 0xe000, v52
	v_addc_co_u32_e32 v77, vcc, 0, v1, vcc
	v_add_co_u32_e32 v78, vcc, 0xf000, v52
	global_load_dwordx2 v[28:29], v[8:9], off offset:-4096
	global_load_dwordx2 v[16:17], v[8:9], off
	global_load_dwordx2 v[14:15], v[8:9], off offset:2048
	global_load_dwordx2 v[10:11], v[18:19], off offset:-4096
	global_load_dwordx2 v[24:25], v[18:19], off
	global_load_dwordx2 v[22:23], v[18:19], off offset:2048
	global_load_dwordx2 v[12:13], v[42:43], off offset:-4096
	s_nop 0
	global_load_dwordx2 v[8:9], v[42:43], off
	global_load_dwordx2 v[50:51], v[36:37], off offset:2048
	global_load_dwordx2 v[48:49], v[38:39], off offset:2048
	global_load_dwordx2 v[34:35], v[40:41], off offset:2048
	global_load_dwordx2 v[26:27], v[44:45], off offset:2048
	global_load_dwordx2 v[32:33], v[42:43], off offset:2048
	global_load_dwordx2 v[30:31], v[46:47], off offset:-4096
	global_load_dwordx2 v[20:21], v[46:47], off
	global_load_dwordx2 v[18:19], v[46:47], off offset:2048
	v_addc_co_u32_e32 v79, vcc, 0, v1, vcc
	global_load_dwordx2 v[46:47], v[74:75], off
	global_load_dwordx2 v[44:45], v[74:75], off offset:2048
	global_load_dwordx2 v[38:39], v[76:77], off
	global_load_dwordx2 v[36:37], v[76:77], off offset:2048
	global_load_dwordx2 v[52:53], v[72:73], off offset:-4096
	global_load_dwordx2 v[54:55], v[70:71], off offset:2048
	global_load_dwordx2 v[40:41], v[78:79], off
	global_load_dwordx2 v[56:57], v[70:71], off
	global_load_dwordx2 v[58:59], v[70:71], off offset:-4096
	global_load_dwordx2 v[42:43], v[78:79], off offset:2048
	global_load_dwordx2 v[62:63], v66, s[0:1]
	global_load_dwordx2 v[60:61], v[68:69], off offset:2048
	global_load_dwordx2 v[64:65], v66, s[0:1] offset:2048
	s_cmp_eq_u32 s7, 0
	s_cbranch_scc1 .LBB29_5
; %bb.1:
	v_cmp_ne_u32_e32 vcc, 0, v0
	v_add_u32_e32 v67, -8, v66
	s_branch .LBB29_3
.LBB29_2:                               ;   in Loop: Header=BB29_3 Depth=1
	s_or_b64 exec, exec, s[0:1]
	s_waitcnt vmcnt(0)
	v_add_f64 v[68:69], v[64:65], -v[62:63]
	v_add_f64 v[62:63], v[62:63], v[0:1]
	v_add_f64 v[0:1], v[58:59], -v[64:65]
	v_add_f64 v[64:65], v[64:65], v[68:69]
	;; [unrolled: 2-line block ×30, first 2 shown]
	v_add_f64 v[68:69], v[42:43], -v[40:41]
	s_add_i32 s7, s7, -1
	v_add_f64 v[40:41], v[40:41], v[0:1]
	v_add_f64 v[42:43], v[42:43], v[68:69]
	s_cmp_lg_u32 s7, 0
	s_barrier
	s_cbranch_scc0 .LBB29_5
.LBB29_3:                               ; =>This Inner Loop Header: Depth=1
	s_waitcnt vmcnt(2)
	v_pk_mov_b32 v[0:1], v[62:63], v[62:63] op_sel:[0,1]
	ds_write_b64 v66, v[42:43]
	s_waitcnt lgkmcnt(0)
	s_barrier
	s_and_saveexec_b64 s[0:1], vcc
	s_cbranch_execz .LBB29_2
; %bb.4:                                ;   in Loop: Header=BB29_3 Depth=1
	ds_read_b64 v[0:1], v67
	s_waitcnt lgkmcnt(0)
	v_add_f64 v[0:1], v[62:63], -v[0:1]
	s_branch .LBB29_2
.LBB29_5:
	s_add_u32 s0, s2, s4
	s_addc_u32 s1, s3, s5
	v_mov_b32_e32 v0, s1
	v_add_co_u32_e32 v67, vcc, s0, v66
	v_addc_co_u32_e32 v68, vcc, 0, v0, vcc
	v_add_co_u32_e32 v0, vcc, 0x1000, v67
	v_addc_co_u32_e32 v1, vcc, 0, v68, vcc
	s_waitcnt vmcnt(2)
	global_store_dwordx2 v66, v[62:63], s[0:1]
	s_waitcnt vmcnt(1)
	global_store_dwordx2 v66, v[64:65], s[0:1] offset:2048
	global_store_dwordx2 v[0:1], v[58:59], off
	global_store_dwordx2 v[0:1], v[60:61], off offset:2048
	v_add_co_u32_e32 v0, vcc, 0x2000, v67
	v_addc_co_u32_e32 v1, vcc, 0, v68, vcc
	global_store_dwordx2 v[0:1], v[56:57], off
	global_store_dwordx2 v[0:1], v[54:55], off offset:2048
	v_add_co_u32_e32 v0, vcc, 0x3000, v67
	v_addc_co_u32_e32 v1, vcc, 0, v68, vcc
	;; [unrolled: 4-line block ×14, first 2 shown]
	global_store_dwordx2 v[0:1], v[40:41], off
	global_store_dwordx2 v[0:1], v[42:43], off offset:2048
	s_endpgm
	.section	.rodata,"a",@progbits
	.p2align	6, 0x0
	.amdhsa_kernel _Z6kernelI13subtract_leftLj256ELj32ELb0EJPdS1_jEEvDpT3_
		.amdhsa_group_segment_fixed_size 4096
		.amdhsa_private_segment_fixed_size 0
		.amdhsa_kernarg_size 20
		.amdhsa_user_sgpr_count 6
		.amdhsa_user_sgpr_private_segment_buffer 1
		.amdhsa_user_sgpr_dispatch_ptr 0
		.amdhsa_user_sgpr_queue_ptr 0
		.amdhsa_user_sgpr_kernarg_segment_ptr 1
		.amdhsa_user_sgpr_dispatch_id 0
		.amdhsa_user_sgpr_flat_scratch_init 0
		.amdhsa_user_sgpr_kernarg_preload_length 0
		.amdhsa_user_sgpr_kernarg_preload_offset 0
		.amdhsa_user_sgpr_private_segment_size 0
		.amdhsa_uses_dynamic_stack 0
		.amdhsa_system_sgpr_private_segment_wavefront_offset 0
		.amdhsa_system_sgpr_workgroup_id_x 1
		.amdhsa_system_sgpr_workgroup_id_y 0
		.amdhsa_system_sgpr_workgroup_id_z 0
		.amdhsa_system_sgpr_workgroup_info 0
		.amdhsa_system_vgpr_workitem_id 0
		.amdhsa_next_free_vgpr 80
		.amdhsa_next_free_sgpr 8
		.amdhsa_accum_offset 80
		.amdhsa_reserve_vcc 1
		.amdhsa_reserve_flat_scratch 0
		.amdhsa_float_round_mode_32 0
		.amdhsa_float_round_mode_16_64 0
		.amdhsa_float_denorm_mode_32 3
		.amdhsa_float_denorm_mode_16_64 3
		.amdhsa_dx10_clamp 1
		.amdhsa_ieee_mode 1
		.amdhsa_fp16_overflow 0
		.amdhsa_tg_split 0
		.amdhsa_exception_fp_ieee_invalid_op 0
		.amdhsa_exception_fp_denorm_src 0
		.amdhsa_exception_fp_ieee_div_zero 0
		.amdhsa_exception_fp_ieee_overflow 0
		.amdhsa_exception_fp_ieee_underflow 0
		.amdhsa_exception_fp_ieee_inexact 0
		.amdhsa_exception_int_div_zero 0
	.end_amdhsa_kernel
	.section	.text._Z6kernelI13subtract_leftLj256ELj32ELb0EJPdS1_jEEvDpT3_,"axG",@progbits,_Z6kernelI13subtract_leftLj256ELj32ELb0EJPdS1_jEEvDpT3_,comdat
.Lfunc_end29:
	.size	_Z6kernelI13subtract_leftLj256ELj32ELb0EJPdS1_jEEvDpT3_, .Lfunc_end29-_Z6kernelI13subtract_leftLj256ELj32ELb0EJPdS1_jEEvDpT3_
                                        ; -- End function
	.section	.AMDGPU.csdata,"",@progbits
; Kernel info:
; codeLenInByte = 1596
; NumSgprs: 12
; NumVgprs: 80
; NumAgprs: 0
; TotalNumVgprs: 80
; ScratchSize: 0
; MemoryBound: 0
; FloatMode: 240
; IeeeMode: 1
; LDSByteSize: 4096 bytes/workgroup (compile time only)
; SGPRBlocks: 1
; VGPRBlocks: 9
; NumSGPRsForWavesPerEU: 12
; NumVGPRsForWavesPerEU: 80
; AccumOffset: 80
; Occupancy: 6
; WaveLimiterHint : 1
; COMPUTE_PGM_RSRC2:SCRATCH_EN: 0
; COMPUTE_PGM_RSRC2:USER_SGPR: 6
; COMPUTE_PGM_RSRC2:TRAP_HANDLER: 0
; COMPUTE_PGM_RSRC2:TGID_X_EN: 1
; COMPUTE_PGM_RSRC2:TGID_Y_EN: 0
; COMPUTE_PGM_RSRC2:TGID_Z_EN: 0
; COMPUTE_PGM_RSRC2:TIDIG_COMP_CNT: 0
; COMPUTE_PGM_RSRC3_GFX90A:ACCUM_OFFSET: 19
; COMPUTE_PGM_RSRC3_GFX90A:TG_SPLIT: 0
	.section	.text._Z6kernelI13subtract_leftLj256ELj1ELb1EJPiS1_jEEvDpT3_,"axG",@progbits,_Z6kernelI13subtract_leftLj256ELj1ELb1EJPiS1_jEEvDpT3_,comdat
	.protected	_Z6kernelI13subtract_leftLj256ELj1ELb1EJPiS1_jEEvDpT3_ ; -- Begin function _Z6kernelI13subtract_leftLj256ELj1ELb1EJPiS1_jEEvDpT3_
	.globl	_Z6kernelI13subtract_leftLj256ELj1ELb1EJPiS1_jEEvDpT3_
	.p2align	8
	.type	_Z6kernelI13subtract_leftLj256ELj1ELb1EJPiS1_jEEvDpT3_,@function
_Z6kernelI13subtract_leftLj256ELj1ELb1EJPiS1_jEEvDpT3_: ; @_Z6kernelI13subtract_leftLj256ELj1ELb1EJPiS1_jEEvDpT3_
; %bb.0:
	s_load_dwordx4 s[0:3], s[4:5], 0x0
	s_load_dword s7, s[4:5], 0x10
	s_lshl_b32 s4, s6, 8
	s_mov_b32 s5, 0
	s_lshl_b64 s[4:5], s[4:5], 2
	s_waitcnt lgkmcnt(0)
	s_add_u32 s0, s0, s4
	s_addc_u32 s1, s1, s5
	v_lshlrev_b32_e32 v1, 2, v0
	global_load_dword v2, v1, s[0:1]
	s_cmp_eq_u32 s7, 0
	s_cbranch_scc1 .LBB30_5
; %bb.1:
	v_cmp_ne_u32_e32 vcc, 0, v0
	v_add_u32_e32 v0, -4, v1
	s_branch .LBB30_3
.LBB30_2:                               ;   in Loop: Header=BB30_3 Depth=1
	s_or_b64 exec, exec, s[0:1]
	v_lshlrev_b32_e32 v2, 1, v2
	s_add_i32 s7, s7, -1
	s_waitcnt lgkmcnt(0)
	v_sub_u32_e32 v2, v2, v3
	s_cmp_lg_u32 s7, 0
	s_barrier
	s_cbranch_scc0 .LBB30_5
.LBB30_3:                               ; =>This Inner Loop Header: Depth=1
	v_mov_b32_e32 v3, 0x7b
	s_waitcnt vmcnt(0)
	ds_write_b32 v1, v2
	s_waitcnt lgkmcnt(0)
	s_barrier
	s_and_saveexec_b64 s[0:1], vcc
	s_cbranch_execz .LBB30_2
; %bb.4:                                ;   in Loop: Header=BB30_3 Depth=1
	ds_read_b32 v3, v0
	s_branch .LBB30_2
.LBB30_5:
	s_add_u32 s0, s2, s4
	s_addc_u32 s1, s3, s5
	s_waitcnt vmcnt(0)
	global_store_dword v1, v2, s[0:1]
	s_endpgm
	.section	.rodata,"a",@progbits
	.p2align	6, 0x0
	.amdhsa_kernel _Z6kernelI13subtract_leftLj256ELj1ELb1EJPiS1_jEEvDpT3_
		.amdhsa_group_segment_fixed_size 2048
		.amdhsa_private_segment_fixed_size 0
		.amdhsa_kernarg_size 20
		.amdhsa_user_sgpr_count 6
		.amdhsa_user_sgpr_private_segment_buffer 1
		.amdhsa_user_sgpr_dispatch_ptr 0
		.amdhsa_user_sgpr_queue_ptr 0
		.amdhsa_user_sgpr_kernarg_segment_ptr 1
		.amdhsa_user_sgpr_dispatch_id 0
		.amdhsa_user_sgpr_flat_scratch_init 0
		.amdhsa_user_sgpr_kernarg_preload_length 0
		.amdhsa_user_sgpr_kernarg_preload_offset 0
		.amdhsa_user_sgpr_private_segment_size 0
		.amdhsa_uses_dynamic_stack 0
		.amdhsa_system_sgpr_private_segment_wavefront_offset 0
		.amdhsa_system_sgpr_workgroup_id_x 1
		.amdhsa_system_sgpr_workgroup_id_y 0
		.amdhsa_system_sgpr_workgroup_id_z 0
		.amdhsa_system_sgpr_workgroup_info 0
		.amdhsa_system_vgpr_workitem_id 0
		.amdhsa_next_free_vgpr 4
		.amdhsa_next_free_sgpr 8
		.amdhsa_accum_offset 4
		.amdhsa_reserve_vcc 1
		.amdhsa_reserve_flat_scratch 0
		.amdhsa_float_round_mode_32 0
		.amdhsa_float_round_mode_16_64 0
		.amdhsa_float_denorm_mode_32 3
		.amdhsa_float_denorm_mode_16_64 3
		.amdhsa_dx10_clamp 1
		.amdhsa_ieee_mode 1
		.amdhsa_fp16_overflow 0
		.amdhsa_tg_split 0
		.amdhsa_exception_fp_ieee_invalid_op 0
		.amdhsa_exception_fp_denorm_src 0
		.amdhsa_exception_fp_ieee_div_zero 0
		.amdhsa_exception_fp_ieee_overflow 0
		.amdhsa_exception_fp_ieee_underflow 0
		.amdhsa_exception_fp_ieee_inexact 0
		.amdhsa_exception_int_div_zero 0
	.end_amdhsa_kernel
	.section	.text._Z6kernelI13subtract_leftLj256ELj1ELb1EJPiS1_jEEvDpT3_,"axG",@progbits,_Z6kernelI13subtract_leftLj256ELj1ELb1EJPiS1_jEEvDpT3_,comdat
.Lfunc_end30:
	.size	_Z6kernelI13subtract_leftLj256ELj1ELb1EJPiS1_jEEvDpT3_, .Lfunc_end30-_Z6kernelI13subtract_leftLj256ELj1ELb1EJPiS1_jEEvDpT3_
                                        ; -- End function
	.section	.AMDGPU.csdata,"",@progbits
; Kernel info:
; codeLenInByte = 176
; NumSgprs: 12
; NumVgprs: 4
; NumAgprs: 0
; TotalNumVgprs: 4
; ScratchSize: 0
; MemoryBound: 0
; FloatMode: 240
; IeeeMode: 1
; LDSByteSize: 2048 bytes/workgroup (compile time only)
; SGPRBlocks: 1
; VGPRBlocks: 0
; NumSGPRsForWavesPerEU: 12
; NumVGPRsForWavesPerEU: 4
; AccumOffset: 4
; Occupancy: 8
; WaveLimiterHint : 0
; COMPUTE_PGM_RSRC2:SCRATCH_EN: 0
; COMPUTE_PGM_RSRC2:USER_SGPR: 6
; COMPUTE_PGM_RSRC2:TRAP_HANDLER: 0
; COMPUTE_PGM_RSRC2:TGID_X_EN: 1
; COMPUTE_PGM_RSRC2:TGID_Y_EN: 0
; COMPUTE_PGM_RSRC2:TGID_Z_EN: 0
; COMPUTE_PGM_RSRC2:TIDIG_COMP_CNT: 0
; COMPUTE_PGM_RSRC3_GFX90A:ACCUM_OFFSET: 0
; COMPUTE_PGM_RSRC3_GFX90A:TG_SPLIT: 0
	.section	.text._Z6kernelI13subtract_leftLj256ELj3ELb1EJPiS1_jEEvDpT3_,"axG",@progbits,_Z6kernelI13subtract_leftLj256ELj3ELb1EJPiS1_jEEvDpT3_,comdat
	.protected	_Z6kernelI13subtract_leftLj256ELj3ELb1EJPiS1_jEEvDpT3_ ; -- Begin function _Z6kernelI13subtract_leftLj256ELj3ELb1EJPiS1_jEEvDpT3_
	.globl	_Z6kernelI13subtract_leftLj256ELj3ELb1EJPiS1_jEEvDpT3_
	.p2align	8
	.type	_Z6kernelI13subtract_leftLj256ELj3ELb1EJPiS1_jEEvDpT3_,@function
_Z6kernelI13subtract_leftLj256ELj3ELb1EJPiS1_jEEvDpT3_: ; @_Z6kernelI13subtract_leftLj256ELj3ELb1EJPiS1_jEEvDpT3_
; %bb.0:
	s_load_dwordx4 s[0:3], s[4:5], 0x0
	s_load_dword s7, s[4:5], 0x10
	s_mul_i32 s4, s6, 0x300
	s_mov_b32 s5, 0
	s_lshl_b64 s[4:5], s[4:5], 2
	s_waitcnt lgkmcnt(0)
	s_add_u32 s0, s0, s4
	s_addc_u32 s1, s1, s5
	v_lshlrev_b32_e32 v1, 2, v0
	global_load_dword v3, v1, s[0:1]
	global_load_dword v4, v1, s[0:1] offset:1024
	global_load_dword v2, v1, s[0:1] offset:2048
	s_cmp_eq_u32 s7, 0
	s_cbranch_scc1 .LBB31_6
; %bb.1:
	v_cmp_ne_u32_e32 vcc, 0, v0
	v_add_u32_e32 v0, -4, v1
.LBB31_2:                               ; =>This Inner Loop Header: Depth=1
	v_mov_b32_e32 v5, 0x7b
	s_waitcnt vmcnt(0)
	ds_write_b32 v1, v2
	s_waitcnt lgkmcnt(0)
	s_barrier
	s_and_saveexec_b64 s[0:1], vcc
	s_cbranch_execz .LBB31_4
; %bb.3:                                ;   in Loop: Header=BB31_2 Depth=1
	ds_read_b32 v5, v0
.LBB31_4:                               ;   in Loop: Header=BB31_2 Depth=1
	s_or_b64 exec, exec, s[0:1]
	v_lshlrev_b32_e32 v6, 1, v3
	s_waitcnt lgkmcnt(0)
	v_sub_u32_e32 v6, v6, v5
	v_lshlrev_b32_e32 v5, 1, v4
	v_lshlrev_b32_e32 v2, 1, v2
	s_add_i32 s7, s7, -1
	v_sub_u32_e32 v5, v5, v3
	v_sub_u32_e32 v2, v2, v4
	s_cmp_lg_u32 s7, 0
	s_barrier
	s_cbranch_scc0 .LBB31_7
; %bb.5:                                ;   in Loop: Header=BB31_2 Depth=1
	v_mov_b32_e32 v3, v6
	v_mov_b32_e32 v4, v5
	s_branch .LBB31_2
.LBB31_6:
	s_waitcnt vmcnt(1)
	v_mov_b32_e32 v5, v4
	v_mov_b32_e32 v6, v3
.LBB31_7:
	s_add_u32 s0, s2, s4
	s_addc_u32 s1, s3, s5
	global_store_dword v1, v6, s[0:1]
	global_store_dword v1, v5, s[0:1] offset:1024
	s_waitcnt vmcnt(2)
	global_store_dword v1, v2, s[0:1] offset:2048
	s_endpgm
	.section	.rodata,"a",@progbits
	.p2align	6, 0x0
	.amdhsa_kernel _Z6kernelI13subtract_leftLj256ELj3ELb1EJPiS1_jEEvDpT3_
		.amdhsa_group_segment_fixed_size 2048
		.amdhsa_private_segment_fixed_size 0
		.amdhsa_kernarg_size 20
		.amdhsa_user_sgpr_count 6
		.amdhsa_user_sgpr_private_segment_buffer 1
		.amdhsa_user_sgpr_dispatch_ptr 0
		.amdhsa_user_sgpr_queue_ptr 0
		.amdhsa_user_sgpr_kernarg_segment_ptr 1
		.amdhsa_user_sgpr_dispatch_id 0
		.amdhsa_user_sgpr_flat_scratch_init 0
		.amdhsa_user_sgpr_kernarg_preload_length 0
		.amdhsa_user_sgpr_kernarg_preload_offset 0
		.amdhsa_user_sgpr_private_segment_size 0
		.amdhsa_uses_dynamic_stack 0
		.amdhsa_system_sgpr_private_segment_wavefront_offset 0
		.amdhsa_system_sgpr_workgroup_id_x 1
		.amdhsa_system_sgpr_workgroup_id_y 0
		.amdhsa_system_sgpr_workgroup_id_z 0
		.amdhsa_system_sgpr_workgroup_info 0
		.amdhsa_system_vgpr_workitem_id 0
		.amdhsa_next_free_vgpr 7
		.amdhsa_next_free_sgpr 8
		.amdhsa_accum_offset 8
		.amdhsa_reserve_vcc 1
		.amdhsa_reserve_flat_scratch 0
		.amdhsa_float_round_mode_32 0
		.amdhsa_float_round_mode_16_64 0
		.amdhsa_float_denorm_mode_32 3
		.amdhsa_float_denorm_mode_16_64 3
		.amdhsa_dx10_clamp 1
		.amdhsa_ieee_mode 1
		.amdhsa_fp16_overflow 0
		.amdhsa_tg_split 0
		.amdhsa_exception_fp_ieee_invalid_op 0
		.amdhsa_exception_fp_denorm_src 0
		.amdhsa_exception_fp_ieee_div_zero 0
		.amdhsa_exception_fp_ieee_overflow 0
		.amdhsa_exception_fp_ieee_underflow 0
		.amdhsa_exception_fp_ieee_inexact 0
		.amdhsa_exception_int_div_zero 0
	.end_amdhsa_kernel
	.section	.text._Z6kernelI13subtract_leftLj256ELj3ELb1EJPiS1_jEEvDpT3_,"axG",@progbits,_Z6kernelI13subtract_leftLj256ELj3ELb1EJPiS1_jEEvDpT3_,comdat
.Lfunc_end31:
	.size	_Z6kernelI13subtract_leftLj256ELj3ELb1EJPiS1_jEEvDpT3_, .Lfunc_end31-_Z6kernelI13subtract_leftLj256ELj3ELb1EJPiS1_jEEvDpT3_
                                        ; -- End function
	.section	.AMDGPU.csdata,"",@progbits
; Kernel info:
; codeLenInByte = 244
; NumSgprs: 12
; NumVgprs: 7
; NumAgprs: 0
; TotalNumVgprs: 7
; ScratchSize: 0
; MemoryBound: 0
; FloatMode: 240
; IeeeMode: 1
; LDSByteSize: 2048 bytes/workgroup (compile time only)
; SGPRBlocks: 1
; VGPRBlocks: 0
; NumSGPRsForWavesPerEU: 12
; NumVGPRsForWavesPerEU: 7
; AccumOffset: 8
; Occupancy: 8
; WaveLimiterHint : 1
; COMPUTE_PGM_RSRC2:SCRATCH_EN: 0
; COMPUTE_PGM_RSRC2:USER_SGPR: 6
; COMPUTE_PGM_RSRC2:TRAP_HANDLER: 0
; COMPUTE_PGM_RSRC2:TGID_X_EN: 1
; COMPUTE_PGM_RSRC2:TGID_Y_EN: 0
; COMPUTE_PGM_RSRC2:TGID_Z_EN: 0
; COMPUTE_PGM_RSRC2:TIDIG_COMP_CNT: 0
; COMPUTE_PGM_RSRC3_GFX90A:ACCUM_OFFSET: 1
; COMPUTE_PGM_RSRC3_GFX90A:TG_SPLIT: 0
	.section	.text._Z6kernelI13subtract_leftLj256ELj4ELb1EJPiS1_jEEvDpT3_,"axG",@progbits,_Z6kernelI13subtract_leftLj256ELj4ELb1EJPiS1_jEEvDpT3_,comdat
	.protected	_Z6kernelI13subtract_leftLj256ELj4ELb1EJPiS1_jEEvDpT3_ ; -- Begin function _Z6kernelI13subtract_leftLj256ELj4ELb1EJPiS1_jEEvDpT3_
	.globl	_Z6kernelI13subtract_leftLj256ELj4ELb1EJPiS1_jEEvDpT3_
	.p2align	8
	.type	_Z6kernelI13subtract_leftLj256ELj4ELb1EJPiS1_jEEvDpT3_,@function
_Z6kernelI13subtract_leftLj256ELj4ELb1EJPiS1_jEEvDpT3_: ; @_Z6kernelI13subtract_leftLj256ELj4ELb1EJPiS1_jEEvDpT3_
; %bb.0:
	s_load_dwordx4 s[0:3], s[4:5], 0x0
	s_load_dword s7, s[4:5], 0x10
	s_lshl_b32 s4, s6, 10
	s_mov_b32 s5, 0
	s_lshl_b64 s[4:5], s[4:5], 2
	s_waitcnt lgkmcnt(0)
	s_add_u32 s0, s0, s4
	s_addc_u32 s1, s1, s5
	v_lshlrev_b32_e32 v1, 2, v0
	global_load_dword v3, v1, s[0:1]
	global_load_dword v4, v1, s[0:1] offset:1024
	global_load_dword v5, v1, s[0:1] offset:2048
	;; [unrolled: 1-line block ×3, first 2 shown]
	s_cmp_eq_u32 s7, 0
	s_cbranch_scc1 .LBB32_6
; %bb.1:
	v_cmp_ne_u32_e32 vcc, 0, v0
	v_add_u32_e32 v0, -4, v1
.LBB32_2:                               ; =>This Inner Loop Header: Depth=1
	v_mov_b32_e32 v6, 0x7b
	s_waitcnt vmcnt(0)
	ds_write_b32 v1, v2
	s_waitcnt lgkmcnt(0)
	s_barrier
	s_and_saveexec_b64 s[0:1], vcc
	s_cbranch_execz .LBB32_4
; %bb.3:                                ;   in Loop: Header=BB32_2 Depth=1
	ds_read_b32 v6, v0
.LBB32_4:                               ;   in Loop: Header=BB32_2 Depth=1
	s_or_b64 exec, exec, s[0:1]
	v_lshlrev_b32_e32 v7, 1, v3
	s_waitcnt lgkmcnt(0)
	v_sub_u32_e32 v8, v7, v6
	v_lshlrev_b32_e32 v6, 1, v4
	v_sub_u32_e32 v7, v6, v3
	v_lshlrev_b32_e32 v3, 1, v5
	v_lshlrev_b32_e32 v2, 1, v2
	s_add_i32 s7, s7, -1
	v_sub_u32_e32 v6, v3, v4
	v_sub_u32_e32 v2, v2, v5
	s_cmp_lg_u32 s7, 0
	s_barrier
	s_cbranch_scc0 .LBB32_7
; %bb.5:                                ;   in Loop: Header=BB32_2 Depth=1
	v_mov_b32_e32 v3, v8
	v_mov_b32_e32 v4, v7
	;; [unrolled: 1-line block ×3, first 2 shown]
	s_branch .LBB32_2
.LBB32_6:
	s_waitcnt vmcnt(1)
	v_mov_b32_e32 v6, v5
	v_mov_b32_e32 v7, v4
	;; [unrolled: 1-line block ×3, first 2 shown]
.LBB32_7:
	s_add_u32 s0, s2, s4
	s_addc_u32 s1, s3, s5
	global_store_dword v1, v8, s[0:1]
	global_store_dword v1, v7, s[0:1] offset:1024
	global_store_dword v1, v6, s[0:1] offset:2048
	s_waitcnt vmcnt(3)
	global_store_dword v1, v2, s[0:1] offset:3072
	s_endpgm
	.section	.rodata,"a",@progbits
	.p2align	6, 0x0
	.amdhsa_kernel _Z6kernelI13subtract_leftLj256ELj4ELb1EJPiS1_jEEvDpT3_
		.amdhsa_group_segment_fixed_size 2048
		.amdhsa_private_segment_fixed_size 0
		.amdhsa_kernarg_size 20
		.amdhsa_user_sgpr_count 6
		.amdhsa_user_sgpr_private_segment_buffer 1
		.amdhsa_user_sgpr_dispatch_ptr 0
		.amdhsa_user_sgpr_queue_ptr 0
		.amdhsa_user_sgpr_kernarg_segment_ptr 1
		.amdhsa_user_sgpr_dispatch_id 0
		.amdhsa_user_sgpr_flat_scratch_init 0
		.amdhsa_user_sgpr_kernarg_preload_length 0
		.amdhsa_user_sgpr_kernarg_preload_offset 0
		.amdhsa_user_sgpr_private_segment_size 0
		.amdhsa_uses_dynamic_stack 0
		.amdhsa_system_sgpr_private_segment_wavefront_offset 0
		.amdhsa_system_sgpr_workgroup_id_x 1
		.amdhsa_system_sgpr_workgroup_id_y 0
		.amdhsa_system_sgpr_workgroup_id_z 0
		.amdhsa_system_sgpr_workgroup_info 0
		.amdhsa_system_vgpr_workitem_id 0
		.amdhsa_next_free_vgpr 9
		.amdhsa_next_free_sgpr 8
		.amdhsa_accum_offset 12
		.amdhsa_reserve_vcc 1
		.amdhsa_reserve_flat_scratch 0
		.amdhsa_float_round_mode_32 0
		.amdhsa_float_round_mode_16_64 0
		.amdhsa_float_denorm_mode_32 3
		.amdhsa_float_denorm_mode_16_64 3
		.amdhsa_dx10_clamp 1
		.amdhsa_ieee_mode 1
		.amdhsa_fp16_overflow 0
		.amdhsa_tg_split 0
		.amdhsa_exception_fp_ieee_invalid_op 0
		.amdhsa_exception_fp_denorm_src 0
		.amdhsa_exception_fp_ieee_div_zero 0
		.amdhsa_exception_fp_ieee_overflow 0
		.amdhsa_exception_fp_ieee_underflow 0
		.amdhsa_exception_fp_ieee_inexact 0
		.amdhsa_exception_int_div_zero 0
	.end_amdhsa_kernel
	.section	.text._Z6kernelI13subtract_leftLj256ELj4ELb1EJPiS1_jEEvDpT3_,"axG",@progbits,_Z6kernelI13subtract_leftLj256ELj4ELb1EJPiS1_jEEvDpT3_,comdat
.Lfunc_end32:
	.size	_Z6kernelI13subtract_leftLj256ELj4ELb1EJPiS1_jEEvDpT3_, .Lfunc_end32-_Z6kernelI13subtract_leftLj256ELj4ELb1EJPiS1_jEEvDpT3_
                                        ; -- End function
	.section	.AMDGPU.csdata,"",@progbits
; Kernel info:
; codeLenInByte = 272
; NumSgprs: 12
; NumVgprs: 9
; NumAgprs: 0
; TotalNumVgprs: 9
; ScratchSize: 0
; MemoryBound: 0
; FloatMode: 240
; IeeeMode: 1
; LDSByteSize: 2048 bytes/workgroup (compile time only)
; SGPRBlocks: 1
; VGPRBlocks: 1
; NumSGPRsForWavesPerEU: 12
; NumVGPRsForWavesPerEU: 9
; AccumOffset: 12
; Occupancy: 8
; WaveLimiterHint : 1
; COMPUTE_PGM_RSRC2:SCRATCH_EN: 0
; COMPUTE_PGM_RSRC2:USER_SGPR: 6
; COMPUTE_PGM_RSRC2:TRAP_HANDLER: 0
; COMPUTE_PGM_RSRC2:TGID_X_EN: 1
; COMPUTE_PGM_RSRC2:TGID_Y_EN: 0
; COMPUTE_PGM_RSRC2:TGID_Z_EN: 0
; COMPUTE_PGM_RSRC2:TIDIG_COMP_CNT: 0
; COMPUTE_PGM_RSRC3_GFX90A:ACCUM_OFFSET: 2
; COMPUTE_PGM_RSRC3_GFX90A:TG_SPLIT: 0
	.section	.text._Z6kernelI13subtract_leftLj256ELj8ELb1EJPiS1_jEEvDpT3_,"axG",@progbits,_Z6kernelI13subtract_leftLj256ELj8ELb1EJPiS1_jEEvDpT3_,comdat
	.protected	_Z6kernelI13subtract_leftLj256ELj8ELb1EJPiS1_jEEvDpT3_ ; -- Begin function _Z6kernelI13subtract_leftLj256ELj8ELb1EJPiS1_jEEvDpT3_
	.globl	_Z6kernelI13subtract_leftLj256ELj8ELb1EJPiS1_jEEvDpT3_
	.p2align	8
	.type	_Z6kernelI13subtract_leftLj256ELj8ELb1EJPiS1_jEEvDpT3_,@function
_Z6kernelI13subtract_leftLj256ELj8ELb1EJPiS1_jEEvDpT3_: ; @_Z6kernelI13subtract_leftLj256ELj8ELb1EJPiS1_jEEvDpT3_
; %bb.0:
	s_load_dwordx4 s[0:3], s[4:5], 0x0
	s_load_dword s7, s[4:5], 0x10
	s_lshl_b32 s4, s6, 11
	s_mov_b32 s5, 0
	s_lshl_b64 s[4:5], s[4:5], 2
	s_waitcnt lgkmcnt(0)
	s_add_u32 s0, s0, s4
	s_addc_u32 s1, s1, s5
	v_lshlrev_b32_e32 v1, 2, v0
	v_mov_b32_e32 v2, s1
	v_add_co_u32_e32 v3, vcc, s0, v1
	v_addc_co_u32_e32 v2, vcc, 0, v2, vcc
	v_add_co_u32_e32 v10, vcc, 0x1000, v3
	v_addc_co_u32_e32 v11, vcc, 0, v2, vcc
	global_load_dword v3, v1, s[0:1]
	global_load_dword v4, v1, s[0:1] offset:1024
	global_load_dword v5, v1, s[0:1] offset:2048
	;; [unrolled: 1-line block ×3, first 2 shown]
	global_load_dword v7, v[10:11], off
	global_load_dword v8, v[10:11], off offset:1024
	global_load_dword v9, v[10:11], off offset:2048
	;; [unrolled: 1-line block ×3, first 2 shown]
	s_cmp_eq_u32 s7, 0
	s_cbranch_scc1 .LBB33_6
; %bb.1:
	v_cmp_ne_u32_e32 vcc, 0, v0
	v_add_u32_e32 v0, -4, v1
.LBB33_2:                               ; =>This Inner Loop Header: Depth=1
	v_mov_b32_e32 v10, 0x7b
	s_waitcnt vmcnt(0)
	ds_write_b32 v1, v2
	s_waitcnt lgkmcnt(0)
	s_barrier
	s_and_saveexec_b64 s[0:1], vcc
	s_cbranch_execz .LBB33_4
; %bb.3:                                ;   in Loop: Header=BB33_2 Depth=1
	ds_read_b32 v10, v0
.LBB33_4:                               ;   in Loop: Header=BB33_2 Depth=1
	s_or_b64 exec, exec, s[0:1]
	v_lshlrev_b32_e32 v11, 1, v3
	s_waitcnt lgkmcnt(0)
	v_sub_u32_e32 v16, v11, v10
	v_lshlrev_b32_e32 v10, 1, v4
	v_sub_u32_e32 v15, v10, v3
	v_lshlrev_b32_e32 v3, 1, v5
	;; [unrolled: 2-line block ×6, first 2 shown]
	v_lshlrev_b32_e32 v2, 1, v2
	s_add_i32 s7, s7, -1
	v_sub_u32_e32 v10, v3, v8
	v_sub_u32_e32 v2, v2, v9
	s_cmp_lg_u32 s7, 0
	s_barrier
	s_cbranch_scc0 .LBB33_7
; %bb.5:                                ;   in Loop: Header=BB33_2 Depth=1
	v_mov_b32_e32 v3, v16
	v_mov_b32_e32 v4, v15
	;; [unrolled: 1-line block ×7, first 2 shown]
	s_branch .LBB33_2
.LBB33_6:
	s_waitcnt vmcnt(1)
	v_mov_b32_e32 v10, v9
	v_mov_b32_e32 v11, v8
	v_mov_b32_e32 v12, v7
	v_mov_b32_e32 v13, v6
	v_mov_b32_e32 v14, v5
	v_mov_b32_e32 v15, v4
	v_mov_b32_e32 v16, v3
.LBB33_7:
	s_add_u32 s0, s2, s4
	s_addc_u32 s1, s3, s5
	v_mov_b32_e32 v0, s1
	v_add_co_u32_e32 v3, vcc, s0, v1
	v_addc_co_u32_e32 v4, vcc, 0, v0, vcc
	v_add_co_u32_e32 v0, vcc, 0x1000, v3
	global_store_dword v1, v16, s[0:1]
	global_store_dword v1, v15, s[0:1] offset:1024
	global_store_dword v1, v14, s[0:1] offset:2048
	;; [unrolled: 1-line block ×3, first 2 shown]
	v_addc_co_u32_e32 v1, vcc, 0, v4, vcc
	global_store_dword v[0:1], v12, off
	global_store_dword v[0:1], v11, off offset:1024
	global_store_dword v[0:1], v10, off offset:2048
	s_waitcnt vmcnt(7)
	global_store_dword v[0:1], v2, off offset:3072
	s_endpgm
	.section	.rodata,"a",@progbits
	.p2align	6, 0x0
	.amdhsa_kernel _Z6kernelI13subtract_leftLj256ELj8ELb1EJPiS1_jEEvDpT3_
		.amdhsa_group_segment_fixed_size 2048
		.amdhsa_private_segment_fixed_size 0
		.amdhsa_kernarg_size 20
		.amdhsa_user_sgpr_count 6
		.amdhsa_user_sgpr_private_segment_buffer 1
		.amdhsa_user_sgpr_dispatch_ptr 0
		.amdhsa_user_sgpr_queue_ptr 0
		.amdhsa_user_sgpr_kernarg_segment_ptr 1
		.amdhsa_user_sgpr_dispatch_id 0
		.amdhsa_user_sgpr_flat_scratch_init 0
		.amdhsa_user_sgpr_kernarg_preload_length 0
		.amdhsa_user_sgpr_kernarg_preload_offset 0
		.amdhsa_user_sgpr_private_segment_size 0
		.amdhsa_uses_dynamic_stack 0
		.amdhsa_system_sgpr_private_segment_wavefront_offset 0
		.amdhsa_system_sgpr_workgroup_id_x 1
		.amdhsa_system_sgpr_workgroup_id_y 0
		.amdhsa_system_sgpr_workgroup_id_z 0
		.amdhsa_system_sgpr_workgroup_info 0
		.amdhsa_system_vgpr_workitem_id 0
		.amdhsa_next_free_vgpr 17
		.amdhsa_next_free_sgpr 8
		.amdhsa_accum_offset 20
		.amdhsa_reserve_vcc 1
		.amdhsa_reserve_flat_scratch 0
		.amdhsa_float_round_mode_32 0
		.amdhsa_float_round_mode_16_64 0
		.amdhsa_float_denorm_mode_32 3
		.amdhsa_float_denorm_mode_16_64 3
		.amdhsa_dx10_clamp 1
		.amdhsa_ieee_mode 1
		.amdhsa_fp16_overflow 0
		.amdhsa_tg_split 0
		.amdhsa_exception_fp_ieee_invalid_op 0
		.amdhsa_exception_fp_denorm_src 0
		.amdhsa_exception_fp_ieee_div_zero 0
		.amdhsa_exception_fp_ieee_overflow 0
		.amdhsa_exception_fp_ieee_underflow 0
		.amdhsa_exception_fp_ieee_inexact 0
		.amdhsa_exception_int_div_zero 0
	.end_amdhsa_kernel
	.section	.text._Z6kernelI13subtract_leftLj256ELj8ELb1EJPiS1_jEEvDpT3_,"axG",@progbits,_Z6kernelI13subtract_leftLj256ELj8ELb1EJPiS1_jEEvDpT3_,comdat
.Lfunc_end33:
	.size	_Z6kernelI13subtract_leftLj256ELj8ELb1EJPiS1_jEEvDpT3_, .Lfunc_end33-_Z6kernelI13subtract_leftLj256ELj8ELb1EJPiS1_jEEvDpT3_
                                        ; -- End function
	.section	.AMDGPU.csdata,"",@progbits
; Kernel info:
; codeLenInByte = 448
; NumSgprs: 12
; NumVgprs: 17
; NumAgprs: 0
; TotalNumVgprs: 17
; ScratchSize: 0
; MemoryBound: 0
; FloatMode: 240
; IeeeMode: 1
; LDSByteSize: 2048 bytes/workgroup (compile time only)
; SGPRBlocks: 1
; VGPRBlocks: 2
; NumSGPRsForWavesPerEU: 12
; NumVGPRsForWavesPerEU: 17
; AccumOffset: 20
; Occupancy: 8
; WaveLimiterHint : 1
; COMPUTE_PGM_RSRC2:SCRATCH_EN: 0
; COMPUTE_PGM_RSRC2:USER_SGPR: 6
; COMPUTE_PGM_RSRC2:TRAP_HANDLER: 0
; COMPUTE_PGM_RSRC2:TGID_X_EN: 1
; COMPUTE_PGM_RSRC2:TGID_Y_EN: 0
; COMPUTE_PGM_RSRC2:TGID_Z_EN: 0
; COMPUTE_PGM_RSRC2:TIDIG_COMP_CNT: 0
; COMPUTE_PGM_RSRC3_GFX90A:ACCUM_OFFSET: 4
; COMPUTE_PGM_RSRC3_GFX90A:TG_SPLIT: 0
	.section	.text._Z6kernelI13subtract_leftLj256ELj16ELb1EJPiS1_jEEvDpT3_,"axG",@progbits,_Z6kernelI13subtract_leftLj256ELj16ELb1EJPiS1_jEEvDpT3_,comdat
	.protected	_Z6kernelI13subtract_leftLj256ELj16ELb1EJPiS1_jEEvDpT3_ ; -- Begin function _Z6kernelI13subtract_leftLj256ELj16ELb1EJPiS1_jEEvDpT3_
	.globl	_Z6kernelI13subtract_leftLj256ELj16ELb1EJPiS1_jEEvDpT3_
	.p2align	8
	.type	_Z6kernelI13subtract_leftLj256ELj16ELb1EJPiS1_jEEvDpT3_,@function
_Z6kernelI13subtract_leftLj256ELj16ELb1EJPiS1_jEEvDpT3_: ; @_Z6kernelI13subtract_leftLj256ELj16ELb1EJPiS1_jEEvDpT3_
; %bb.0:
	s_load_dwordx4 s[0:3], s[4:5], 0x0
	s_load_dword s7, s[4:5], 0x10
	s_lshl_b32 s4, s6, 12
	s_mov_b32 s5, 0
	s_lshl_b64 s[4:5], s[4:5], 2
	s_waitcnt lgkmcnt(0)
	s_add_u32 s0, s0, s4
	s_addc_u32 s1, s1, s5
	v_lshlrev_b32_e32 v1, 2, v0
	v_mov_b32_e32 v2, s1
	v_add_co_u32_e32 v6, vcc, s0, v1
	v_addc_co_u32_e32 v7, vcc, 0, v2, vcc
	s_movk_i32 s6, 0x1000
	v_add_co_u32_e32 v18, vcc, s6, v6
	v_addc_co_u32_e32 v19, vcc, 0, v7, vcc
	s_movk_i32 s6, 0x2000
	v_add_co_u32_e32 v20, vcc, s6, v6
	v_addc_co_u32_e32 v21, vcc, 0, v7, vcc
	v_add_co_u32_e32 v22, vcc, 0x3000, v6
	global_load_dword v5, v[20:21], off
	global_load_dword v4, v[20:21], off offset:1024
	global_load_dword v3, v[20:21], off offset:2048
	;; [unrolled: 1-line block ×3, first 2 shown]
	v_addc_co_u32_e32 v23, vcc, 0, v7, vcc
	global_load_dword v16, v1, s[0:1]
	global_load_dword v15, v1, s[0:1] offset:1024
	global_load_dword v14, v1, s[0:1] offset:2048
	;; [unrolled: 1-line block ×3, first 2 shown]
	global_load_dword v12, v[18:19], off offset:1024
	global_load_dword v11, v[18:19], off offset:2048
	;; [unrolled: 1-line block ×3, first 2 shown]
	global_load_dword v8, v[22:23], off
	global_load_dword v7, v[22:23], off offset:1024
	global_load_dword v6, v[22:23], off offset:2048
	global_load_dword v17, v[20:21], off offset:-4096
	global_load_dword v9, v[22:23], off offset:3072
	s_cmp_eq_u32 s7, 0
	s_cbranch_scc1 .LBB34_5
; %bb.1:
	v_cmp_ne_u32_e32 vcc, 0, v0
	v_add_u32_e32 v0, -4, v1
	s_branch .LBB34_3
.LBB34_2:                               ;   in Loop: Header=BB34_3 Depth=1
	s_or_b64 exec, exec, s[0:1]
	v_sub_u32_e32 v19, v9, v6
	v_sub_u32_e32 v20, v6, v7
	;; [unrolled: 1-line block ×15, first 2 shown]
	s_waitcnt lgkmcnt(0)
	v_sub_u32_e32 v18, v16, v18
	s_add_i32 s7, s7, -1
	v_add_u32_e32 v16, v18, v16
	v_add_u32_e32 v15, v33, v15
	;; [unrolled: 1-line block ×16, first 2 shown]
	s_cmp_lg_u32 s7, 0
	s_barrier
	s_cbranch_scc0 .LBB34_5
.LBB34_3:                               ; =>This Inner Loop Header: Depth=1
	v_mov_b32_e32 v18, 0x7b
	s_waitcnt vmcnt(0)
	ds_write_b32 v1, v9
	s_waitcnt lgkmcnt(0)
	s_barrier
	s_and_saveexec_b64 s[0:1], vcc
	s_cbranch_execz .LBB34_2
; %bb.4:                                ;   in Loop: Header=BB34_3 Depth=1
	ds_read_b32 v18, v0
	s_branch .LBB34_2
.LBB34_5:
	s_add_u32 s0, s2, s4
	s_addc_u32 s1, s3, s5
	v_mov_b32_e32 v0, s1
	v_add_co_u32_e32 v18, vcc, s0, v1
	v_addc_co_u32_e32 v19, vcc, 0, v0, vcc
	v_add_co_u32_e32 v0, vcc, 0x1000, v18
	s_waitcnt vmcnt(11)
	global_store_dword v1, v16, s[0:1]
	s_waitcnt vmcnt(11)
	global_store_dword v1, v15, s[0:1] offset:1024
	s_waitcnt vmcnt(11)
	global_store_dword v1, v14, s[0:1] offset:2048
	s_waitcnt vmcnt(11)
	global_store_dword v1, v13, s[0:1] offset:3072
	v_addc_co_u32_e32 v1, vcc, 0, v19, vcc
	s_waitcnt vmcnt(5)
	global_store_dword v[0:1], v17, off
	global_store_dword v[0:1], v12, off offset:1024
	global_store_dword v[0:1], v11, off offset:2048
	;; [unrolled: 1-line block ×3, first 2 shown]
	v_add_co_u32_e32 v0, vcc, 0x2000, v18
	v_addc_co_u32_e32 v1, vcc, 0, v19, vcc
	global_store_dword v[0:1], v5, off
	global_store_dword v[0:1], v4, off offset:1024
	global_store_dword v[0:1], v3, off offset:2048
	;; [unrolled: 1-line block ×3, first 2 shown]
	v_add_co_u32_e32 v0, vcc, 0x3000, v18
	v_addc_co_u32_e32 v1, vcc, 0, v19, vcc
	global_store_dword v[0:1], v8, off
	global_store_dword v[0:1], v7, off offset:1024
	global_store_dword v[0:1], v6, off offset:2048
	s_waitcnt vmcnt(15)
	global_store_dword v[0:1], v9, off offset:3072
	s_endpgm
	.section	.rodata,"a",@progbits
	.p2align	6, 0x0
	.amdhsa_kernel _Z6kernelI13subtract_leftLj256ELj16ELb1EJPiS1_jEEvDpT3_
		.amdhsa_group_segment_fixed_size 2048
		.amdhsa_private_segment_fixed_size 0
		.amdhsa_kernarg_size 20
		.amdhsa_user_sgpr_count 6
		.amdhsa_user_sgpr_private_segment_buffer 1
		.amdhsa_user_sgpr_dispatch_ptr 0
		.amdhsa_user_sgpr_queue_ptr 0
		.amdhsa_user_sgpr_kernarg_segment_ptr 1
		.amdhsa_user_sgpr_dispatch_id 0
		.amdhsa_user_sgpr_flat_scratch_init 0
		.amdhsa_user_sgpr_kernarg_preload_length 0
		.amdhsa_user_sgpr_kernarg_preload_offset 0
		.amdhsa_user_sgpr_private_segment_size 0
		.amdhsa_uses_dynamic_stack 0
		.amdhsa_system_sgpr_private_segment_wavefront_offset 0
		.amdhsa_system_sgpr_workgroup_id_x 1
		.amdhsa_system_sgpr_workgroup_id_y 0
		.amdhsa_system_sgpr_workgroup_id_z 0
		.amdhsa_system_sgpr_workgroup_info 0
		.amdhsa_system_vgpr_workitem_id 0
		.amdhsa_next_free_vgpr 34
		.amdhsa_next_free_sgpr 8
		.amdhsa_accum_offset 36
		.amdhsa_reserve_vcc 1
		.amdhsa_reserve_flat_scratch 0
		.amdhsa_float_round_mode_32 0
		.amdhsa_float_round_mode_16_64 0
		.amdhsa_float_denorm_mode_32 3
		.amdhsa_float_denorm_mode_16_64 3
		.amdhsa_dx10_clamp 1
		.amdhsa_ieee_mode 1
		.amdhsa_fp16_overflow 0
		.amdhsa_tg_split 0
		.amdhsa_exception_fp_ieee_invalid_op 0
		.amdhsa_exception_fp_denorm_src 0
		.amdhsa_exception_fp_ieee_div_zero 0
		.amdhsa_exception_fp_ieee_overflow 0
		.amdhsa_exception_fp_ieee_underflow 0
		.amdhsa_exception_fp_ieee_inexact 0
		.amdhsa_exception_int_div_zero 0
	.end_amdhsa_kernel
	.section	.text._Z6kernelI13subtract_leftLj256ELj16ELb1EJPiS1_jEEvDpT3_,"axG",@progbits,_Z6kernelI13subtract_leftLj256ELj16ELb1EJPiS1_jEEvDpT3_,comdat
.Lfunc_end34:
	.size	_Z6kernelI13subtract_leftLj256ELj16ELb1EJPiS1_jEEvDpT3_, .Lfunc_end34-_Z6kernelI13subtract_leftLj256ELj16ELb1EJPiS1_jEEvDpT3_
                                        ; -- End function
	.section	.AMDGPU.csdata,"",@progbits
; Kernel info:
; codeLenInByte = 652
; NumSgprs: 12
; NumVgprs: 34
; NumAgprs: 0
; TotalNumVgprs: 34
; ScratchSize: 0
; MemoryBound: 0
; FloatMode: 240
; IeeeMode: 1
; LDSByteSize: 2048 bytes/workgroup (compile time only)
; SGPRBlocks: 1
; VGPRBlocks: 4
; NumSGPRsForWavesPerEU: 12
; NumVGPRsForWavesPerEU: 34
; AccumOffset: 36
; Occupancy: 8
; WaveLimiterHint : 1
; COMPUTE_PGM_RSRC2:SCRATCH_EN: 0
; COMPUTE_PGM_RSRC2:USER_SGPR: 6
; COMPUTE_PGM_RSRC2:TRAP_HANDLER: 0
; COMPUTE_PGM_RSRC2:TGID_X_EN: 1
; COMPUTE_PGM_RSRC2:TGID_Y_EN: 0
; COMPUTE_PGM_RSRC2:TGID_Z_EN: 0
; COMPUTE_PGM_RSRC2:TIDIG_COMP_CNT: 0
; COMPUTE_PGM_RSRC3_GFX90A:ACCUM_OFFSET: 8
; COMPUTE_PGM_RSRC3_GFX90A:TG_SPLIT: 0
	.section	.text._Z6kernelI13subtract_leftLj256ELj32ELb1EJPiS1_jEEvDpT3_,"axG",@progbits,_Z6kernelI13subtract_leftLj256ELj32ELb1EJPiS1_jEEvDpT3_,comdat
	.protected	_Z6kernelI13subtract_leftLj256ELj32ELb1EJPiS1_jEEvDpT3_ ; -- Begin function _Z6kernelI13subtract_leftLj256ELj32ELb1EJPiS1_jEEvDpT3_
	.globl	_Z6kernelI13subtract_leftLj256ELj32ELb1EJPiS1_jEEvDpT3_
	.p2align	8
	.type	_Z6kernelI13subtract_leftLj256ELj32ELb1EJPiS1_jEEvDpT3_,@function
_Z6kernelI13subtract_leftLj256ELj32ELb1EJPiS1_jEEvDpT3_: ; @_Z6kernelI13subtract_leftLj256ELj32ELb1EJPiS1_jEEvDpT3_
; %bb.0:
	s_load_dwordx4 s[0:3], s[4:5], 0x0
	s_load_dword s7, s[4:5], 0x10
	s_lshl_b32 s4, s6, 13
	s_mov_b32 s5, 0
	s_lshl_b64 s[4:5], s[4:5], 2
	s_waitcnt lgkmcnt(0)
	s_add_u32 s0, s0, s4
	s_addc_u32 s1, s1, s5
	v_lshlrev_b32_e32 v1, 2, v0
	v_mov_b32_e32 v2, s1
	v_add_co_u32_e32 v17, vcc, s0, v1
	v_addc_co_u32_e32 v20, vcc, 0, v2, vcc
	s_movk_i32 s6, 0x1000
	v_add_co_u32_e32 v4, vcc, s6, v17
	v_addc_co_u32_e32 v5, vcc, 0, v20, vcc
	s_movk_i32 s6, 0x2000
	;; [unrolled: 3-line block ×4, first 2 shown]
	v_add_co_u32_e32 v18, vcc, s6, v17
	v_addc_co_u32_e32 v19, vcc, 0, v20, vcc
	global_load_dword v27, v1, s[0:1]
	global_load_dword v26, v1, s[0:1] offset:1024
	global_load_dword v25, v1, s[0:1] offset:2048
	;; [unrolled: 1-line block ×3, first 2 shown]
	global_load_dword v16, v[4:5], off offset:1024
	global_load_dword v15, v[4:5], off offset:2048
	;; [unrolled: 1-line block ×4, first 2 shown]
	global_load_dword v13, v[34:35], off
	global_load_dword v12, v[34:35], off offset:1024
	global_load_dword v11, v[34:35], off offset:2048
	;; [unrolled: 1-line block ×3, first 2 shown]
	global_load_dword v8, v[18:19], off offset:-4096
	global_load_dword v2, v[18:19], off
	s_movk_i32 s0, 0x5000
	v_add_co_u32_e32 v38, vcc, s0, v17
	v_addc_co_u32_e32 v39, vcc, 0, v20, vcc
	s_movk_i32 s0, 0x6000
	v_add_co_u32_e32 v28, vcc, s0, v17
	v_addc_co_u32_e32 v29, vcc, 0, v20, vcc
	v_add_co_u32_e32 v40, vcc, 0x7000, v17
	global_load_dword v23, v[18:19], off offset:1024
	global_load_dword v22, v[18:19], off offset:2048
	;; [unrolled: 1-line block ×3, first 2 shown]
	global_load_dword v9, v[28:29], off offset:-4096
	global_load_dword v7, v[28:29], off
	global_load_dword v6, v[28:29], off offset:1024
	global_load_dword v5, v[28:29], off offset:2048
	;; [unrolled: 1-line block ×3, first 2 shown]
	v_addc_co_u32_e32 v41, vcc, 0, v20, vcc
	global_load_dword v32, v[36:37], off offset:2048
	global_load_dword v31, v[36:37], off offset:3072
	;; [unrolled: 1-line block ×5, first 2 shown]
	global_load_dword v19, v[40:41], off
	global_load_dword v18, v[40:41], off offset:1024
	global_load_dword v17, v[40:41], off offset:2048
	global_load_dword v33, v[34:35], off offset:-4096
	global_load_dword v20, v[40:41], off offset:3072
	s_cmp_eq_u32 s7, 0
	s_cbranch_scc1 .LBB35_5
; %bb.1:
	v_cmp_ne_u32_e32 vcc, 0, v0
	v_add_u32_e32 v0, -4, v1
	s_branch .LBB35_3
.LBB35_2:                               ;   in Loop: Header=BB35_3 Depth=1
	s_or_b64 exec, exec, s[0:1]
	v_sub_u32_e32 v61, v26, v27
	s_waitcnt lgkmcnt(0)
	v_sub_u32_e32 v34, v27, v34
	v_add_u32_e32 v27, v34, v27
	v_sub_u32_e32 v34, v25, v26
	v_add_u32_e32 v26, v61, v26
	v_sub_u32_e32 v61, v24, v25
	v_sub_u32_e32 v35, v20, v17
	;; [unrolled: 1-line block ×27, first 2 shown]
	v_add_u32_e32 v25, v34, v25
	v_sub_u32_e32 v34, v33, v24
	v_add_u32_e32 v24, v61, v24
	v_sub_u32_e32 v61, v16, v33
	s_add_i32 s7, s7, -1
	v_add_u32_e32 v33, v34, v33
	v_add_u32_e32 v16, v61, v16
	;; [unrolled: 1-line block ×28, first 2 shown]
	s_cmp_lg_u32 s7, 0
	s_barrier
	s_cbranch_scc0 .LBB35_5
.LBB35_3:                               ; =>This Inner Loop Header: Depth=1
	v_mov_b32_e32 v34, 0x7b
	s_waitcnt vmcnt(0)
	ds_write_b32 v1, v20
	s_waitcnt lgkmcnt(0)
	s_barrier
	s_and_saveexec_b64 s[0:1], vcc
	s_cbranch_execz .LBB35_2
; %bb.4:                                ;   in Loop: Header=BB35_3 Depth=1
	ds_read_b32 v34, v0
	s_branch .LBB35_2
.LBB35_5:
	s_add_u32 s0, s2, s4
	s_addc_u32 s1, s3, s5
	v_mov_b32_e32 v0, s1
	v_add_co_u32_e32 v34, vcc, s0, v1
	v_addc_co_u32_e32 v35, vcc, 0, v0, vcc
	v_add_co_u32_e32 v0, vcc, 0x1000, v34
	s_waitcnt vmcnt(31)
	global_store_dword v1, v27, s[0:1]
	s_waitcnt vmcnt(31)
	global_store_dword v1, v26, s[0:1] offset:1024
	s_waitcnt vmcnt(31)
	global_store_dword v1, v25, s[0:1] offset:2048
	;; [unrolled: 2-line block ×3, first 2 shown]
	v_addc_co_u32_e32 v1, vcc, 0, v35, vcc
	s_waitcnt vmcnt(5)
	global_store_dword v[0:1], v33, off
	global_store_dword v[0:1], v16, off offset:1024
	global_store_dword v[0:1], v15, off offset:2048
	global_store_dword v[0:1], v14, off offset:3072
	v_add_co_u32_e32 v0, vcc, 0x2000, v34
	v_addc_co_u32_e32 v1, vcc, 0, v35, vcc
	global_store_dword v[0:1], v13, off
	global_store_dword v[0:1], v12, off offset:1024
	global_store_dword v[0:1], v11, off offset:2048
	global_store_dword v[0:1], v10, off offset:3072
	v_add_co_u32_e32 v0, vcc, 0x3000, v34
	v_addc_co_u32_e32 v1, vcc, 0, v35, vcc
	global_store_dword v[0:1], v8, off
	global_store_dword v[0:1], v3, off offset:1024
	global_store_dword v[0:1], v32, off offset:2048
	global_store_dword v[0:1], v31, off offset:3072
	v_add_co_u32_e32 v0, vcc, 0x4000, v34
	v_addc_co_u32_e32 v1, vcc, 0, v35, vcc
	global_store_dword v[0:1], v2, off
	global_store_dword v[0:1], v23, off offset:1024
	global_store_dword v[0:1], v22, off offset:2048
	global_store_dword v[0:1], v21, off offset:3072
	v_add_co_u32_e32 v0, vcc, 0x5000, v34
	v_addc_co_u32_e32 v1, vcc, 0, v35, vcc
	global_store_dword v[0:1], v9, off
	global_store_dword v[0:1], v30, off offset:1024
	global_store_dword v[0:1], v29, off offset:2048
	global_store_dword v[0:1], v28, off offset:3072
	v_add_co_u32_e32 v0, vcc, 0x6000, v34
	v_addc_co_u32_e32 v1, vcc, 0, v35, vcc
	global_store_dword v[0:1], v7, off
	global_store_dword v[0:1], v6, off offset:1024
	global_store_dword v[0:1], v5, off offset:2048
	global_store_dword v[0:1], v4, off offset:3072
	v_add_co_u32_e32 v0, vcc, 0x7000, v34
	v_addc_co_u32_e32 v1, vcc, 0, v35, vcc
	global_store_dword v[0:1], v19, off
	global_store_dword v[0:1], v18, off offset:1024
	global_store_dword v[0:1], v17, off offset:2048
	s_waitcnt vmcnt(31)
	global_store_dword v[0:1], v20, off offset:3072
	s_endpgm
	.section	.rodata,"a",@progbits
	.p2align	6, 0x0
	.amdhsa_kernel _Z6kernelI13subtract_leftLj256ELj32ELb1EJPiS1_jEEvDpT3_
		.amdhsa_group_segment_fixed_size 2048
		.amdhsa_private_segment_fixed_size 0
		.amdhsa_kernarg_size 20
		.amdhsa_user_sgpr_count 6
		.amdhsa_user_sgpr_private_segment_buffer 1
		.amdhsa_user_sgpr_dispatch_ptr 0
		.amdhsa_user_sgpr_queue_ptr 0
		.amdhsa_user_sgpr_kernarg_segment_ptr 1
		.amdhsa_user_sgpr_dispatch_id 0
		.amdhsa_user_sgpr_flat_scratch_init 0
		.amdhsa_user_sgpr_kernarg_preload_length 0
		.amdhsa_user_sgpr_kernarg_preload_offset 0
		.amdhsa_user_sgpr_private_segment_size 0
		.amdhsa_uses_dynamic_stack 0
		.amdhsa_system_sgpr_private_segment_wavefront_offset 0
		.amdhsa_system_sgpr_workgroup_id_x 1
		.amdhsa_system_sgpr_workgroup_id_y 0
		.amdhsa_system_sgpr_workgroup_id_z 0
		.amdhsa_system_sgpr_workgroup_info 0
		.amdhsa_system_vgpr_workitem_id 0
		.amdhsa_next_free_vgpr 62
		.amdhsa_next_free_sgpr 8
		.amdhsa_accum_offset 64
		.amdhsa_reserve_vcc 1
		.amdhsa_reserve_flat_scratch 0
		.amdhsa_float_round_mode_32 0
		.amdhsa_float_round_mode_16_64 0
		.amdhsa_float_denorm_mode_32 3
		.amdhsa_float_denorm_mode_16_64 3
		.amdhsa_dx10_clamp 1
		.amdhsa_ieee_mode 1
		.amdhsa_fp16_overflow 0
		.amdhsa_tg_split 0
		.amdhsa_exception_fp_ieee_invalid_op 0
		.amdhsa_exception_fp_denorm_src 0
		.amdhsa_exception_fp_ieee_div_zero 0
		.amdhsa_exception_fp_ieee_overflow 0
		.amdhsa_exception_fp_ieee_underflow 0
		.amdhsa_exception_fp_ieee_inexact 0
		.amdhsa_exception_int_div_zero 0
	.end_amdhsa_kernel
	.section	.text._Z6kernelI13subtract_leftLj256ELj32ELb1EJPiS1_jEEvDpT3_,"axG",@progbits,_Z6kernelI13subtract_leftLj256ELj32ELb1EJPiS1_jEEvDpT3_,comdat
.Lfunc_end35:
	.size	_Z6kernelI13subtract_leftLj256ELj32ELb1EJPiS1_jEEvDpT3_, .Lfunc_end35-_Z6kernelI13subtract_leftLj256ELj32ELb1EJPiS1_jEEvDpT3_
                                        ; -- End function
	.section	.AMDGPU.csdata,"",@progbits
; Kernel info:
; codeLenInByte = 1132
; NumSgprs: 12
; NumVgprs: 62
; NumAgprs: 0
; TotalNumVgprs: 62
; ScratchSize: 0
; MemoryBound: 0
; FloatMode: 240
; IeeeMode: 1
; LDSByteSize: 2048 bytes/workgroup (compile time only)
; SGPRBlocks: 1
; VGPRBlocks: 7
; NumSGPRsForWavesPerEU: 12
; NumVGPRsForWavesPerEU: 62
; AccumOffset: 64
; Occupancy: 8
; WaveLimiterHint : 1
; COMPUTE_PGM_RSRC2:SCRATCH_EN: 0
; COMPUTE_PGM_RSRC2:USER_SGPR: 6
; COMPUTE_PGM_RSRC2:TRAP_HANDLER: 0
; COMPUTE_PGM_RSRC2:TGID_X_EN: 1
; COMPUTE_PGM_RSRC2:TGID_Y_EN: 0
; COMPUTE_PGM_RSRC2:TGID_Z_EN: 0
; COMPUTE_PGM_RSRC2:TIDIG_COMP_CNT: 0
; COMPUTE_PGM_RSRC3_GFX90A:ACCUM_OFFSET: 15
; COMPUTE_PGM_RSRC3_GFX90A:TG_SPLIT: 0
	.section	.text._Z6kernelI13subtract_leftLj256ELj1ELb1EJPfS1_jEEvDpT3_,"axG",@progbits,_Z6kernelI13subtract_leftLj256ELj1ELb1EJPfS1_jEEvDpT3_,comdat
	.protected	_Z6kernelI13subtract_leftLj256ELj1ELb1EJPfS1_jEEvDpT3_ ; -- Begin function _Z6kernelI13subtract_leftLj256ELj1ELb1EJPfS1_jEEvDpT3_
	.globl	_Z6kernelI13subtract_leftLj256ELj1ELb1EJPfS1_jEEvDpT3_
	.p2align	8
	.type	_Z6kernelI13subtract_leftLj256ELj1ELb1EJPfS1_jEEvDpT3_,@function
_Z6kernelI13subtract_leftLj256ELj1ELb1EJPfS1_jEEvDpT3_: ; @_Z6kernelI13subtract_leftLj256ELj1ELb1EJPfS1_jEEvDpT3_
; %bb.0:
	s_load_dwordx4 s[0:3], s[4:5], 0x0
	s_load_dword s7, s[4:5], 0x10
	s_lshl_b32 s4, s6, 8
	s_mov_b32 s5, 0
	s_lshl_b64 s[4:5], s[4:5], 2
	s_waitcnt lgkmcnt(0)
	s_add_u32 s0, s0, s4
	s_addc_u32 s1, s1, s5
	v_lshlrev_b32_e32 v1, 2, v0
	global_load_dword v2, v1, s[0:1]
	s_cmp_eq_u32 s7, 0
	s_cbranch_scc1 .LBB36_5
; %bb.1:
	v_cmp_ne_u32_e32 vcc, 0, v0
	v_add_u32_e32 v0, -4, v1
	s_branch .LBB36_3
.LBB36_2:                               ;   in Loop: Header=BB36_3 Depth=1
	s_or_b64 exec, exec, s[0:1]
	s_waitcnt lgkmcnt(0)
	v_sub_f32_e32 v3, v2, v3
	s_add_i32 s7, s7, -1
	v_add_f32_e32 v2, v2, v3
	s_cmp_lg_u32 s7, 0
	s_barrier
	s_cbranch_scc0 .LBB36_5
.LBB36_3:                               ; =>This Inner Loop Header: Depth=1
	v_mov_b32_e32 v3, 0x42f60000
	s_waitcnt vmcnt(0)
	ds_write_b32 v1, v2
	s_waitcnt lgkmcnt(0)
	s_barrier
	s_and_saveexec_b64 s[0:1], vcc
	s_cbranch_execz .LBB36_2
; %bb.4:                                ;   in Loop: Header=BB36_3 Depth=1
	ds_read_b32 v3, v0
	s_branch .LBB36_2
.LBB36_5:
	s_add_u32 s0, s2, s4
	s_addc_u32 s1, s3, s5
	s_waitcnt vmcnt(0)
	global_store_dword v1, v2, s[0:1]
	s_endpgm
	.section	.rodata,"a",@progbits
	.p2align	6, 0x0
	.amdhsa_kernel _Z6kernelI13subtract_leftLj256ELj1ELb1EJPfS1_jEEvDpT3_
		.amdhsa_group_segment_fixed_size 2048
		.amdhsa_private_segment_fixed_size 0
		.amdhsa_kernarg_size 20
		.amdhsa_user_sgpr_count 6
		.amdhsa_user_sgpr_private_segment_buffer 1
		.amdhsa_user_sgpr_dispatch_ptr 0
		.amdhsa_user_sgpr_queue_ptr 0
		.amdhsa_user_sgpr_kernarg_segment_ptr 1
		.amdhsa_user_sgpr_dispatch_id 0
		.amdhsa_user_sgpr_flat_scratch_init 0
		.amdhsa_user_sgpr_kernarg_preload_length 0
		.amdhsa_user_sgpr_kernarg_preload_offset 0
		.amdhsa_user_sgpr_private_segment_size 0
		.amdhsa_uses_dynamic_stack 0
		.amdhsa_system_sgpr_private_segment_wavefront_offset 0
		.amdhsa_system_sgpr_workgroup_id_x 1
		.amdhsa_system_sgpr_workgroup_id_y 0
		.amdhsa_system_sgpr_workgroup_id_z 0
		.amdhsa_system_sgpr_workgroup_info 0
		.amdhsa_system_vgpr_workitem_id 0
		.amdhsa_next_free_vgpr 4
		.amdhsa_next_free_sgpr 8
		.amdhsa_accum_offset 4
		.amdhsa_reserve_vcc 1
		.amdhsa_reserve_flat_scratch 0
		.amdhsa_float_round_mode_32 0
		.amdhsa_float_round_mode_16_64 0
		.amdhsa_float_denorm_mode_32 3
		.amdhsa_float_denorm_mode_16_64 3
		.amdhsa_dx10_clamp 1
		.amdhsa_ieee_mode 1
		.amdhsa_fp16_overflow 0
		.amdhsa_tg_split 0
		.amdhsa_exception_fp_ieee_invalid_op 0
		.amdhsa_exception_fp_denorm_src 0
		.amdhsa_exception_fp_ieee_div_zero 0
		.amdhsa_exception_fp_ieee_overflow 0
		.amdhsa_exception_fp_ieee_underflow 0
		.amdhsa_exception_fp_ieee_inexact 0
		.amdhsa_exception_int_div_zero 0
	.end_amdhsa_kernel
	.section	.text._Z6kernelI13subtract_leftLj256ELj1ELb1EJPfS1_jEEvDpT3_,"axG",@progbits,_Z6kernelI13subtract_leftLj256ELj1ELb1EJPfS1_jEEvDpT3_,comdat
.Lfunc_end36:
	.size	_Z6kernelI13subtract_leftLj256ELj1ELb1EJPfS1_jEEvDpT3_, .Lfunc_end36-_Z6kernelI13subtract_leftLj256ELj1ELb1EJPfS1_jEEvDpT3_
                                        ; -- End function
	.section	.AMDGPU.csdata,"",@progbits
; Kernel info:
; codeLenInByte = 176
; NumSgprs: 12
; NumVgprs: 4
; NumAgprs: 0
; TotalNumVgprs: 4
; ScratchSize: 0
; MemoryBound: 0
; FloatMode: 240
; IeeeMode: 1
; LDSByteSize: 2048 bytes/workgroup (compile time only)
; SGPRBlocks: 1
; VGPRBlocks: 0
; NumSGPRsForWavesPerEU: 12
; NumVGPRsForWavesPerEU: 4
; AccumOffset: 4
; Occupancy: 8
; WaveLimiterHint : 0
; COMPUTE_PGM_RSRC2:SCRATCH_EN: 0
; COMPUTE_PGM_RSRC2:USER_SGPR: 6
; COMPUTE_PGM_RSRC2:TRAP_HANDLER: 0
; COMPUTE_PGM_RSRC2:TGID_X_EN: 1
; COMPUTE_PGM_RSRC2:TGID_Y_EN: 0
; COMPUTE_PGM_RSRC2:TGID_Z_EN: 0
; COMPUTE_PGM_RSRC2:TIDIG_COMP_CNT: 0
; COMPUTE_PGM_RSRC3_GFX90A:ACCUM_OFFSET: 0
; COMPUTE_PGM_RSRC3_GFX90A:TG_SPLIT: 0
	.section	.text._Z6kernelI13subtract_leftLj256ELj3ELb1EJPfS1_jEEvDpT3_,"axG",@progbits,_Z6kernelI13subtract_leftLj256ELj3ELb1EJPfS1_jEEvDpT3_,comdat
	.protected	_Z6kernelI13subtract_leftLj256ELj3ELb1EJPfS1_jEEvDpT3_ ; -- Begin function _Z6kernelI13subtract_leftLj256ELj3ELb1EJPfS1_jEEvDpT3_
	.globl	_Z6kernelI13subtract_leftLj256ELj3ELb1EJPfS1_jEEvDpT3_
	.p2align	8
	.type	_Z6kernelI13subtract_leftLj256ELj3ELb1EJPfS1_jEEvDpT3_,@function
_Z6kernelI13subtract_leftLj256ELj3ELb1EJPfS1_jEEvDpT3_: ; @_Z6kernelI13subtract_leftLj256ELj3ELb1EJPfS1_jEEvDpT3_
; %bb.0:
	s_load_dwordx4 s[0:3], s[4:5], 0x0
	s_load_dword s7, s[4:5], 0x10
	s_mul_i32 s4, s6, 0x300
	s_mov_b32 s5, 0
	s_lshl_b64 s[4:5], s[4:5], 2
	s_waitcnt lgkmcnt(0)
	s_add_u32 s0, s0, s4
	s_addc_u32 s1, s1, s5
	v_lshlrev_b32_e32 v1, 2, v0
	global_load_dword v2, v1, s[0:1]
	global_load_dword v3, v1, s[0:1] offset:1024
	global_load_dword v4, v1, s[0:1] offset:2048
	s_cmp_eq_u32 s7, 0
	s_cbranch_scc1 .LBB37_5
; %bb.1:
	v_cmp_ne_u32_e32 vcc, 0, v0
	v_add_u32_e32 v0, -4, v1
	s_branch .LBB37_3
.LBB37_2:                               ;   in Loop: Header=BB37_3 Depth=1
	s_or_b64 exec, exec, s[0:1]
	v_sub_f32_e32 v8, v4, v3
	v_sub_f32_e32 v7, v3, v2
	s_waitcnt lgkmcnt(0)
	v_sub_f32_e32 v6, v2, v5
	s_add_i32 s7, s7, -1
	v_pk_add_f32 v[2:3], v[2:3], v[6:7]
	v_add_f32_e32 v4, v4, v8
	s_cmp_lg_u32 s7, 0
	s_barrier
	s_cbranch_scc0 .LBB37_5
.LBB37_3:                               ; =>This Inner Loop Header: Depth=1
	v_mov_b32_e32 v5, 0x42f60000
	s_waitcnt vmcnt(0)
	ds_write_b32 v1, v4
	s_waitcnt lgkmcnt(0)
	s_barrier
	s_and_saveexec_b64 s[0:1], vcc
	s_cbranch_execz .LBB37_2
; %bb.4:                                ;   in Loop: Header=BB37_3 Depth=1
	ds_read_b32 v5, v0
	s_branch .LBB37_2
.LBB37_5:
	s_add_u32 s0, s2, s4
	s_addc_u32 s1, s3, s5
	s_waitcnt vmcnt(2)
	global_store_dword v1, v2, s[0:1]
	s_waitcnt vmcnt(2)
	global_store_dword v1, v3, s[0:1] offset:1024
	s_waitcnt vmcnt(2)
	global_store_dword v1, v4, s[0:1] offset:2048
	s_endpgm
	.section	.rodata,"a",@progbits
	.p2align	6, 0x0
	.amdhsa_kernel _Z6kernelI13subtract_leftLj256ELj3ELb1EJPfS1_jEEvDpT3_
		.amdhsa_group_segment_fixed_size 2048
		.amdhsa_private_segment_fixed_size 0
		.amdhsa_kernarg_size 20
		.amdhsa_user_sgpr_count 6
		.amdhsa_user_sgpr_private_segment_buffer 1
		.amdhsa_user_sgpr_dispatch_ptr 0
		.amdhsa_user_sgpr_queue_ptr 0
		.amdhsa_user_sgpr_kernarg_segment_ptr 1
		.amdhsa_user_sgpr_dispatch_id 0
		.amdhsa_user_sgpr_flat_scratch_init 0
		.amdhsa_user_sgpr_kernarg_preload_length 0
		.amdhsa_user_sgpr_kernarg_preload_offset 0
		.amdhsa_user_sgpr_private_segment_size 0
		.amdhsa_uses_dynamic_stack 0
		.amdhsa_system_sgpr_private_segment_wavefront_offset 0
		.amdhsa_system_sgpr_workgroup_id_x 1
		.amdhsa_system_sgpr_workgroup_id_y 0
		.amdhsa_system_sgpr_workgroup_id_z 0
		.amdhsa_system_sgpr_workgroup_info 0
		.amdhsa_system_vgpr_workitem_id 0
		.amdhsa_next_free_vgpr 9
		.amdhsa_next_free_sgpr 8
		.amdhsa_accum_offset 12
		.amdhsa_reserve_vcc 1
		.amdhsa_reserve_flat_scratch 0
		.amdhsa_float_round_mode_32 0
		.amdhsa_float_round_mode_16_64 0
		.amdhsa_float_denorm_mode_32 3
		.amdhsa_float_denorm_mode_16_64 3
		.amdhsa_dx10_clamp 1
		.amdhsa_ieee_mode 1
		.amdhsa_fp16_overflow 0
		.amdhsa_tg_split 0
		.amdhsa_exception_fp_ieee_invalid_op 0
		.amdhsa_exception_fp_denorm_src 0
		.amdhsa_exception_fp_ieee_div_zero 0
		.amdhsa_exception_fp_ieee_overflow 0
		.amdhsa_exception_fp_ieee_underflow 0
		.amdhsa_exception_fp_ieee_inexact 0
		.amdhsa_exception_int_div_zero 0
	.end_amdhsa_kernel
	.section	.text._Z6kernelI13subtract_leftLj256ELj3ELb1EJPfS1_jEEvDpT3_,"axG",@progbits,_Z6kernelI13subtract_leftLj256ELj3ELb1EJPfS1_jEEvDpT3_,comdat
.Lfunc_end37:
	.size	_Z6kernelI13subtract_leftLj256ELj3ELb1EJPfS1_jEEvDpT3_, .Lfunc_end37-_Z6kernelI13subtract_leftLj256ELj3ELb1EJPfS1_jEEvDpT3_
                                        ; -- End function
	.section	.AMDGPU.csdata,"",@progbits
; Kernel info:
; codeLenInByte = 236
; NumSgprs: 12
; NumVgprs: 9
; NumAgprs: 0
; TotalNumVgprs: 9
; ScratchSize: 0
; MemoryBound: 0
; FloatMode: 240
; IeeeMode: 1
; LDSByteSize: 2048 bytes/workgroup (compile time only)
; SGPRBlocks: 1
; VGPRBlocks: 1
; NumSGPRsForWavesPerEU: 12
; NumVGPRsForWavesPerEU: 9
; AccumOffset: 12
; Occupancy: 8
; WaveLimiterHint : 1
; COMPUTE_PGM_RSRC2:SCRATCH_EN: 0
; COMPUTE_PGM_RSRC2:USER_SGPR: 6
; COMPUTE_PGM_RSRC2:TRAP_HANDLER: 0
; COMPUTE_PGM_RSRC2:TGID_X_EN: 1
; COMPUTE_PGM_RSRC2:TGID_Y_EN: 0
; COMPUTE_PGM_RSRC2:TGID_Z_EN: 0
; COMPUTE_PGM_RSRC2:TIDIG_COMP_CNT: 0
; COMPUTE_PGM_RSRC3_GFX90A:ACCUM_OFFSET: 2
; COMPUTE_PGM_RSRC3_GFX90A:TG_SPLIT: 0
	.section	.text._Z6kernelI13subtract_leftLj256ELj4ELb1EJPfS1_jEEvDpT3_,"axG",@progbits,_Z6kernelI13subtract_leftLj256ELj4ELb1EJPfS1_jEEvDpT3_,comdat
	.protected	_Z6kernelI13subtract_leftLj256ELj4ELb1EJPfS1_jEEvDpT3_ ; -- Begin function _Z6kernelI13subtract_leftLj256ELj4ELb1EJPfS1_jEEvDpT3_
	.globl	_Z6kernelI13subtract_leftLj256ELj4ELb1EJPfS1_jEEvDpT3_
	.p2align	8
	.type	_Z6kernelI13subtract_leftLj256ELj4ELb1EJPfS1_jEEvDpT3_,@function
_Z6kernelI13subtract_leftLj256ELj4ELb1EJPfS1_jEEvDpT3_: ; @_Z6kernelI13subtract_leftLj256ELj4ELb1EJPfS1_jEEvDpT3_
; %bb.0:
	s_load_dwordx4 s[0:3], s[4:5], 0x0
	s_load_dword s7, s[4:5], 0x10
	s_lshl_b32 s4, s6, 10
	s_mov_b32 s5, 0
	s_lshl_b64 s[4:5], s[4:5], 2
	s_waitcnt lgkmcnt(0)
	s_add_u32 s0, s0, s4
	s_addc_u32 s1, s1, s5
	v_lshlrev_b32_e32 v1, 2, v0
	global_load_dword v4, v1, s[0:1]
	global_load_dword v6, v1, s[0:1] offset:1024
	global_load_dword v2, v1, s[0:1] offset:2048
	;; [unrolled: 1-line block ×3, first 2 shown]
	s_cmp_eq_u32 s7, 0
	s_cbranch_scc1 .LBB38_5
; %bb.1:
	v_cmp_ne_u32_e32 vcc, 0, v0
	v_add_u32_e32 v0, -4, v1
	s_branch .LBB38_3
.LBB38_2:                               ;   in Loop: Header=BB38_3 Depth=1
	s_or_b64 exec, exec, s[0:1]
	v_mov_b32_e32 v7, v2
	v_sub_f32_e32 v11, v6, v4
	s_waitcnt lgkmcnt(0)
	v_sub_f32_e32 v10, v4, v5
	v_mov_b32_e32 v5, v6
	v_pk_add_f32 v[8:9], v[2:3], v[6:7] neg_lo:[0,1] neg_hi:[0,1]
	v_pk_add_f32 v[4:5], v[4:5], v[10:11]
	s_add_i32 s7, s7, -1
	v_pk_add_f32 v[2:3], v[2:3], v[8:9]
	s_cmp_lg_u32 s7, 0
	v_mov_b32_e32 v6, v5
	s_barrier
	s_cbranch_scc0 .LBB38_5
.LBB38_3:                               ; =>This Inner Loop Header: Depth=1
	v_mov_b32_e32 v5, 0x42f60000
	s_waitcnt vmcnt(0)
	ds_write_b32 v1, v3
	s_waitcnt lgkmcnt(0)
	s_barrier
	s_and_saveexec_b64 s[0:1], vcc
	s_cbranch_execz .LBB38_2
; %bb.4:                                ;   in Loop: Header=BB38_3 Depth=1
	ds_read_b32 v5, v0
	s_branch .LBB38_2
.LBB38_5:
	s_add_u32 s0, s2, s4
	s_addc_u32 s1, s3, s5
	s_waitcnt vmcnt(3)
	global_store_dword v1, v4, s[0:1]
	s_waitcnt vmcnt(3)
	global_store_dword v1, v6, s[0:1] offset:1024
	s_waitcnt vmcnt(3)
	global_store_dword v1, v2, s[0:1] offset:2048
	;; [unrolled: 2-line block ×3, first 2 shown]
	s_endpgm
	.section	.rodata,"a",@progbits
	.p2align	6, 0x0
	.amdhsa_kernel _Z6kernelI13subtract_leftLj256ELj4ELb1EJPfS1_jEEvDpT3_
		.amdhsa_group_segment_fixed_size 2048
		.amdhsa_private_segment_fixed_size 0
		.amdhsa_kernarg_size 20
		.amdhsa_user_sgpr_count 6
		.amdhsa_user_sgpr_private_segment_buffer 1
		.amdhsa_user_sgpr_dispatch_ptr 0
		.amdhsa_user_sgpr_queue_ptr 0
		.amdhsa_user_sgpr_kernarg_segment_ptr 1
		.amdhsa_user_sgpr_dispatch_id 0
		.amdhsa_user_sgpr_flat_scratch_init 0
		.amdhsa_user_sgpr_kernarg_preload_length 0
		.amdhsa_user_sgpr_kernarg_preload_offset 0
		.amdhsa_user_sgpr_private_segment_size 0
		.amdhsa_uses_dynamic_stack 0
		.amdhsa_system_sgpr_private_segment_wavefront_offset 0
		.amdhsa_system_sgpr_workgroup_id_x 1
		.amdhsa_system_sgpr_workgroup_id_y 0
		.amdhsa_system_sgpr_workgroup_id_z 0
		.amdhsa_system_sgpr_workgroup_info 0
		.amdhsa_system_vgpr_workitem_id 0
		.amdhsa_next_free_vgpr 12
		.amdhsa_next_free_sgpr 8
		.amdhsa_accum_offset 12
		.amdhsa_reserve_vcc 1
		.amdhsa_reserve_flat_scratch 0
		.amdhsa_float_round_mode_32 0
		.amdhsa_float_round_mode_16_64 0
		.amdhsa_float_denorm_mode_32 3
		.amdhsa_float_denorm_mode_16_64 3
		.amdhsa_dx10_clamp 1
		.amdhsa_ieee_mode 1
		.amdhsa_fp16_overflow 0
		.amdhsa_tg_split 0
		.amdhsa_exception_fp_ieee_invalid_op 0
		.amdhsa_exception_fp_denorm_src 0
		.amdhsa_exception_fp_ieee_div_zero 0
		.amdhsa_exception_fp_ieee_overflow 0
		.amdhsa_exception_fp_ieee_underflow 0
		.amdhsa_exception_fp_ieee_inexact 0
		.amdhsa_exception_int_div_zero 0
	.end_amdhsa_kernel
	.section	.text._Z6kernelI13subtract_leftLj256ELj4ELb1EJPfS1_jEEvDpT3_,"axG",@progbits,_Z6kernelI13subtract_leftLj256ELj4ELb1EJPfS1_jEEvDpT3_,comdat
.Lfunc_end38:
	.size	_Z6kernelI13subtract_leftLj256ELj4ELb1EJPfS1_jEEvDpT3_, .Lfunc_end38-_Z6kernelI13subtract_leftLj256ELj4ELb1EJPfS1_jEEvDpT3_
                                        ; -- End function
	.section	.AMDGPU.csdata,"",@progbits
; Kernel info:
; codeLenInByte = 272
; NumSgprs: 12
; NumVgprs: 12
; NumAgprs: 0
; TotalNumVgprs: 12
; ScratchSize: 0
; MemoryBound: 0
; FloatMode: 240
; IeeeMode: 1
; LDSByteSize: 2048 bytes/workgroup (compile time only)
; SGPRBlocks: 1
; VGPRBlocks: 1
; NumSGPRsForWavesPerEU: 12
; NumVGPRsForWavesPerEU: 12
; AccumOffset: 12
; Occupancy: 8
; WaveLimiterHint : 1
; COMPUTE_PGM_RSRC2:SCRATCH_EN: 0
; COMPUTE_PGM_RSRC2:USER_SGPR: 6
; COMPUTE_PGM_RSRC2:TRAP_HANDLER: 0
; COMPUTE_PGM_RSRC2:TGID_X_EN: 1
; COMPUTE_PGM_RSRC2:TGID_Y_EN: 0
; COMPUTE_PGM_RSRC2:TGID_Z_EN: 0
; COMPUTE_PGM_RSRC2:TIDIG_COMP_CNT: 0
; COMPUTE_PGM_RSRC3_GFX90A:ACCUM_OFFSET: 2
; COMPUTE_PGM_RSRC3_GFX90A:TG_SPLIT: 0
	.section	.text._Z6kernelI13subtract_leftLj256ELj8ELb1EJPfS1_jEEvDpT3_,"axG",@progbits,_Z6kernelI13subtract_leftLj256ELj8ELb1EJPfS1_jEEvDpT3_,comdat
	.protected	_Z6kernelI13subtract_leftLj256ELj8ELb1EJPfS1_jEEvDpT3_ ; -- Begin function _Z6kernelI13subtract_leftLj256ELj8ELb1EJPfS1_jEEvDpT3_
	.globl	_Z6kernelI13subtract_leftLj256ELj8ELb1EJPfS1_jEEvDpT3_
	.p2align	8
	.type	_Z6kernelI13subtract_leftLj256ELj8ELb1EJPfS1_jEEvDpT3_,@function
_Z6kernelI13subtract_leftLj256ELj8ELb1EJPfS1_jEEvDpT3_: ; @_Z6kernelI13subtract_leftLj256ELj8ELb1EJPfS1_jEEvDpT3_
; %bb.0:
	s_load_dwordx4 s[0:3], s[4:5], 0x0
	s_load_dword s7, s[4:5], 0x10
	s_lshl_b32 s4, s6, 11
	s_mov_b32 s5, 0
	s_lshl_b64 s[4:5], s[4:5], 2
	s_waitcnt lgkmcnt(0)
	s_add_u32 s0, s0, s4
	s_addc_u32 s1, s1, s5
	v_lshlrev_b32_e32 v1, 2, v0
	v_mov_b32_e32 v2, s1
	v_add_co_u32_e32 v3, vcc, s0, v1
	v_addc_co_u32_e32 v2, vcc, 0, v2, vcc
	v_add_co_u32_e32 v16, vcc, 0x1000, v3
	v_addc_co_u32_e32 v17, vcc, 0, v2, vcc
	global_load_dword v6, v1, s[0:1]
	global_load_dword v10, v1, s[0:1] offset:1024
	global_load_dword v8, v1, s[0:1] offset:2048
	;; [unrolled: 1-line block ×3, first 2 shown]
	global_load_dword v4, v[16:17], off
	global_load_dword v14, v[16:17], off offset:1024
	global_load_dword v2, v[16:17], off offset:2048
	global_load_dword v3, v[16:17], off offset:3072
	s_cmp_eq_u32 s7, 0
	s_cbranch_scc1 .LBB39_5
; %bb.1:
	v_cmp_ne_u32_e32 vcc, 0, v0
	v_add_u32_e32 v0, -4, v1
	s_branch .LBB39_3
.LBB39_2:                               ;   in Loop: Header=BB39_3 Depth=1
	s_or_b64 exec, exec, s[0:1]
	v_mov_b32_e32 v15, v2
	v_mov_b32_e32 v5, v14
	;; [unrolled: 1-line block ×5, first 2 shown]
	v_pk_add_f32 v[16:17], v[2:3], v[14:15] neg_lo:[0,1] neg_hi:[0,1]
	v_pk_add_f32 v[14:15], v[4:5], v[12:13] neg_lo:[0,1] neg_hi:[0,1]
	;; [unrolled: 1-line block ×3, first 2 shown]
	v_sub_f32_e32 v19, v10, v6
	s_waitcnt lgkmcnt(0)
	v_sub_f32_e32 v18, v6, v7
	v_mov_b32_e32 v7, v10
	v_pk_add_f32 v[6:7], v[6:7], v[18:19]
	v_pk_add_f32 v[8:9], v[8:9], v[12:13]
	;; [unrolled: 1-line block ×3, first 2 shown]
	s_add_i32 s7, s7, -1
	v_pk_add_f32 v[2:3], v[2:3], v[16:17]
	v_mov_b32_e32 v10, v7
	v_mov_b32_e32 v12, v9
	s_cmp_lg_u32 s7, 0
	v_mov_b32_e32 v14, v5
	s_barrier
	s_cbranch_scc0 .LBB39_5
.LBB39_3:                               ; =>This Inner Loop Header: Depth=1
	v_mov_b32_e32 v7, 0x42f60000
	s_waitcnt vmcnt(0)
	ds_write_b32 v1, v3
	s_waitcnt lgkmcnt(0)
	s_barrier
	s_and_saveexec_b64 s[0:1], vcc
	s_cbranch_execz .LBB39_2
; %bb.4:                                ;   in Loop: Header=BB39_3 Depth=1
	ds_read_b32 v7, v0
	s_branch .LBB39_2
.LBB39_5:
	s_add_u32 s0, s2, s4
	s_addc_u32 s1, s3, s5
	v_mov_b32_e32 v0, s1
	v_add_co_u32_e32 v5, vcc, s0, v1
	v_addc_co_u32_e32 v7, vcc, 0, v0, vcc
	v_add_co_u32_e32 v0, vcc, 0x1000, v5
	s_waitcnt vmcnt(7)
	global_store_dword v1, v6, s[0:1]
	s_waitcnt vmcnt(7)
	global_store_dword v1, v10, s[0:1] offset:1024
	s_waitcnt vmcnt(7)
	global_store_dword v1, v8, s[0:1] offset:2048
	;; [unrolled: 2-line block ×3, first 2 shown]
	v_addc_co_u32_e32 v1, vcc, 0, v7, vcc
	s_waitcnt vmcnt(7)
	global_store_dword v[0:1], v4, off
	s_waitcnt vmcnt(7)
	global_store_dword v[0:1], v14, off offset:1024
	s_waitcnt vmcnt(7)
	global_store_dword v[0:1], v2, off offset:2048
	;; [unrolled: 2-line block ×3, first 2 shown]
	s_endpgm
	.section	.rodata,"a",@progbits
	.p2align	6, 0x0
	.amdhsa_kernel _Z6kernelI13subtract_leftLj256ELj8ELb1EJPfS1_jEEvDpT3_
		.amdhsa_group_segment_fixed_size 2048
		.amdhsa_private_segment_fixed_size 0
		.amdhsa_kernarg_size 20
		.amdhsa_user_sgpr_count 6
		.amdhsa_user_sgpr_private_segment_buffer 1
		.amdhsa_user_sgpr_dispatch_ptr 0
		.amdhsa_user_sgpr_queue_ptr 0
		.amdhsa_user_sgpr_kernarg_segment_ptr 1
		.amdhsa_user_sgpr_dispatch_id 0
		.amdhsa_user_sgpr_flat_scratch_init 0
		.amdhsa_user_sgpr_kernarg_preload_length 0
		.amdhsa_user_sgpr_kernarg_preload_offset 0
		.amdhsa_user_sgpr_private_segment_size 0
		.amdhsa_uses_dynamic_stack 0
		.amdhsa_system_sgpr_private_segment_wavefront_offset 0
		.amdhsa_system_sgpr_workgroup_id_x 1
		.amdhsa_system_sgpr_workgroup_id_y 0
		.amdhsa_system_sgpr_workgroup_id_z 0
		.amdhsa_system_sgpr_workgroup_info 0
		.amdhsa_system_vgpr_workitem_id 0
		.amdhsa_next_free_vgpr 20
		.amdhsa_next_free_sgpr 8
		.amdhsa_accum_offset 20
		.amdhsa_reserve_vcc 1
		.amdhsa_reserve_flat_scratch 0
		.amdhsa_float_round_mode_32 0
		.amdhsa_float_round_mode_16_64 0
		.amdhsa_float_denorm_mode_32 3
		.amdhsa_float_denorm_mode_16_64 3
		.amdhsa_dx10_clamp 1
		.amdhsa_ieee_mode 1
		.amdhsa_fp16_overflow 0
		.amdhsa_tg_split 0
		.amdhsa_exception_fp_ieee_invalid_op 0
		.amdhsa_exception_fp_denorm_src 0
		.amdhsa_exception_fp_ieee_div_zero 0
		.amdhsa_exception_fp_ieee_overflow 0
		.amdhsa_exception_fp_ieee_underflow 0
		.amdhsa_exception_fp_ieee_inexact 0
		.amdhsa_exception_int_div_zero 0
	.end_amdhsa_kernel
	.section	.text._Z6kernelI13subtract_leftLj256ELj8ELb1EJPfS1_jEEvDpT3_,"axG",@progbits,_Z6kernelI13subtract_leftLj256ELj8ELb1EJPfS1_jEEvDpT3_,comdat
.Lfunc_end39:
	.size	_Z6kernelI13subtract_leftLj256ELj8ELb1EJPfS1_jEEvDpT3_, .Lfunc_end39-_Z6kernelI13subtract_leftLj256ELj8ELb1EJPfS1_jEEvDpT3_
                                        ; -- End function
	.section	.AMDGPU.csdata,"",@progbits
; Kernel info:
; codeLenInByte = 456
; NumSgprs: 12
; NumVgprs: 20
; NumAgprs: 0
; TotalNumVgprs: 20
; ScratchSize: 0
; MemoryBound: 0
; FloatMode: 240
; IeeeMode: 1
; LDSByteSize: 2048 bytes/workgroup (compile time only)
; SGPRBlocks: 1
; VGPRBlocks: 2
; NumSGPRsForWavesPerEU: 12
; NumVGPRsForWavesPerEU: 20
; AccumOffset: 20
; Occupancy: 8
; WaveLimiterHint : 1
; COMPUTE_PGM_RSRC2:SCRATCH_EN: 0
; COMPUTE_PGM_RSRC2:USER_SGPR: 6
; COMPUTE_PGM_RSRC2:TRAP_HANDLER: 0
; COMPUTE_PGM_RSRC2:TGID_X_EN: 1
; COMPUTE_PGM_RSRC2:TGID_Y_EN: 0
; COMPUTE_PGM_RSRC2:TGID_Z_EN: 0
; COMPUTE_PGM_RSRC2:TIDIG_COMP_CNT: 0
; COMPUTE_PGM_RSRC3_GFX90A:ACCUM_OFFSET: 4
; COMPUTE_PGM_RSRC3_GFX90A:TG_SPLIT: 0
	.section	.text._Z6kernelI13subtract_leftLj256ELj16ELb1EJPfS1_jEEvDpT3_,"axG",@progbits,_Z6kernelI13subtract_leftLj256ELj16ELb1EJPfS1_jEEvDpT3_,comdat
	.protected	_Z6kernelI13subtract_leftLj256ELj16ELb1EJPfS1_jEEvDpT3_ ; -- Begin function _Z6kernelI13subtract_leftLj256ELj16ELb1EJPfS1_jEEvDpT3_
	.globl	_Z6kernelI13subtract_leftLj256ELj16ELb1EJPfS1_jEEvDpT3_
	.p2align	8
	.type	_Z6kernelI13subtract_leftLj256ELj16ELb1EJPfS1_jEEvDpT3_,@function
_Z6kernelI13subtract_leftLj256ELj16ELb1EJPfS1_jEEvDpT3_: ; @_Z6kernelI13subtract_leftLj256ELj16ELb1EJPfS1_jEEvDpT3_
; %bb.0:
	s_load_dwordx4 s[0:3], s[4:5], 0x0
	s_load_dword s7, s[4:5], 0x10
	s_lshl_b32 s4, s6, 12
	s_mov_b32 s5, 0
	s_lshl_b64 s[4:5], s[4:5], 2
	s_waitcnt lgkmcnt(0)
	s_add_u32 s0, s0, s4
	s_addc_u32 s1, s1, s5
	v_lshlrev_b32_e32 v1, 2, v0
	v_mov_b32_e32 v2, s1
	v_add_co_u32_e32 v6, vcc, s0, v1
	v_addc_co_u32_e32 v7, vcc, 0, v2, vcc
	s_movk_i32 s6, 0x1000
	v_add_co_u32_e32 v18, vcc, s6, v6
	v_addc_co_u32_e32 v19, vcc, 0, v7, vcc
	s_movk_i32 s6, 0x2000
	v_add_co_u32_e32 v20, vcc, s6, v6
	v_addc_co_u32_e32 v21, vcc, 0, v7, vcc
	v_add_co_u32_e32 v22, vcc, 0x3000, v6
	global_load_dword v2, v[20:21], off
	global_load_dword v3, v[20:21], off offset:1024
	global_load_dword v4, v[20:21], off offset:2048
	;; [unrolled: 1-line block ×3, first 2 shown]
	v_addc_co_u32_e32 v23, vcc, 0, v7, vcc
	global_load_dword v14, v1, s[0:1]
	global_load_dword v15, v1, s[0:1] offset:1024
	global_load_dword v16, v1, s[0:1] offset:2048
	;; [unrolled: 1-line block ×3, first 2 shown]
	global_load_dword v13, v[18:19], off offset:1024
	global_load_dword v10, v[18:19], off offset:2048
	;; [unrolled: 1-line block ×3, first 2 shown]
	global_load_dword v6, v[22:23], off
	global_load_dword v7, v[22:23], off offset:1024
	global_load_dword v8, v[22:23], off offset:2048
	global_load_dword v12, v[20:21], off offset:-4096
	global_load_dword v9, v[22:23], off offset:3072
	s_cmp_eq_u32 s7, 0
	s_cbranch_scc1 .LBB40_5
; %bb.1:
	v_cmp_ne_u32_e32 vcc, 0, v0
	v_add_u32_e32 v0, -4, v1
	s_branch .LBB40_3
.LBB40_2:                               ;   in Loop: Header=BB40_3 Depth=1
	s_or_b64 exec, exec, s[0:1]
	v_mov_b32_e32 v20, v7
	v_mov_b32_e32 v21, v8
	v_mov_b32_e32 v22, v5
	v_mov_b32_e32 v23, v6
	v_mov_b32_e32 v24, v3
	v_mov_b32_e32 v25, v4
	v_mov_b32_e32 v26, v11
	v_mov_b32_e32 v27, v2
	v_mov_b32_e32 v28, v13
	v_mov_b32_e32 v29, v10
	v_mov_b32_e32 v30, v17
	v_mov_b32_e32 v31, v12
	v_mov_b32_e32 v32, v15
	v_mov_b32_e32 v33, v16
	v_pk_add_f32 v[34:35], v[14:15], v[14:15] op_sel_hi:[1,0] neg_lo:[0,1] neg_hi:[0,1]
	v_pk_add_f32 v[20:21], v[8:9], v[20:21] neg_lo:[0,1] neg_hi:[0,1]
	v_pk_add_f32 v[22:23], v[6:7], v[22:23] neg_lo:[0,1] neg_hi:[0,1]
	;; [unrolled: 1-line block ×7, first 2 shown]
	s_waitcnt lgkmcnt(0)
	v_sub_f32_e32 v34, v14, v18
	s_add_i32 s7, s7, -1
	v_pk_add_f32 v[14:15], v[14:15], v[34:35]
	v_pk_add_f32 v[16:17], v[16:17], v[32:33]
	;; [unrolled: 1-line block ×8, first 2 shown]
	s_cmp_lg_u32 s7, 0
	s_barrier
	s_cbranch_scc0 .LBB40_5
.LBB40_3:                               ; =>This Inner Loop Header: Depth=1
	v_mov_b32_e32 v18, 0x42f60000
	s_waitcnt vmcnt(0)
	ds_write_b32 v1, v9
	s_waitcnt lgkmcnt(0)
	s_barrier
	s_and_saveexec_b64 s[0:1], vcc
	s_cbranch_execz .LBB40_2
; %bb.4:                                ;   in Loop: Header=BB40_3 Depth=1
	ds_read_b32 v18, v0
	s_branch .LBB40_2
.LBB40_5:
	s_add_u32 s0, s2, s4
	s_addc_u32 s1, s3, s5
	v_mov_b32_e32 v0, s1
	v_add_co_u32_e32 v18, vcc, s0, v1
	v_addc_co_u32_e32 v19, vcc, 0, v0, vcc
	v_add_co_u32_e32 v0, vcc, 0x1000, v18
	s_waitcnt vmcnt(11)
	global_store_dword v1, v14, s[0:1]
	s_waitcnt vmcnt(11)
	global_store_dword v1, v15, s[0:1] offset:1024
	s_waitcnt vmcnt(11)
	global_store_dword v1, v16, s[0:1] offset:2048
	;; [unrolled: 2-line block ×3, first 2 shown]
	v_addc_co_u32_e32 v1, vcc, 0, v19, vcc
	s_waitcnt vmcnt(5)
	global_store_dword v[0:1], v12, off
	global_store_dword v[0:1], v13, off offset:1024
	global_store_dword v[0:1], v10, off offset:2048
	;; [unrolled: 1-line block ×3, first 2 shown]
	v_add_co_u32_e32 v0, vcc, 0x2000, v18
	v_addc_co_u32_e32 v1, vcc, 0, v19, vcc
	global_store_dword v[0:1], v2, off
	global_store_dword v[0:1], v3, off offset:1024
	global_store_dword v[0:1], v4, off offset:2048
	;; [unrolled: 1-line block ×3, first 2 shown]
	v_add_co_u32_e32 v0, vcc, 0x3000, v18
	v_addc_co_u32_e32 v1, vcc, 0, v19, vcc
	global_store_dword v[0:1], v6, off
	global_store_dword v[0:1], v7, off offset:1024
	global_store_dword v[0:1], v8, off offset:2048
	s_waitcnt vmcnt(15)
	global_store_dword v[0:1], v9, off offset:3072
	s_endpgm
	.section	.rodata,"a",@progbits
	.p2align	6, 0x0
	.amdhsa_kernel _Z6kernelI13subtract_leftLj256ELj16ELb1EJPfS1_jEEvDpT3_
		.amdhsa_group_segment_fixed_size 2048
		.amdhsa_private_segment_fixed_size 0
		.amdhsa_kernarg_size 20
		.amdhsa_user_sgpr_count 6
		.amdhsa_user_sgpr_private_segment_buffer 1
		.amdhsa_user_sgpr_dispatch_ptr 0
		.amdhsa_user_sgpr_queue_ptr 0
		.amdhsa_user_sgpr_kernarg_segment_ptr 1
		.amdhsa_user_sgpr_dispatch_id 0
		.amdhsa_user_sgpr_flat_scratch_init 0
		.amdhsa_user_sgpr_kernarg_preload_length 0
		.amdhsa_user_sgpr_kernarg_preload_offset 0
		.amdhsa_user_sgpr_private_segment_size 0
		.amdhsa_uses_dynamic_stack 0
		.amdhsa_system_sgpr_private_segment_wavefront_offset 0
		.amdhsa_system_sgpr_workgroup_id_x 1
		.amdhsa_system_sgpr_workgroup_id_y 0
		.amdhsa_system_sgpr_workgroup_id_z 0
		.amdhsa_system_sgpr_workgroup_info 0
		.amdhsa_system_vgpr_workitem_id 0
		.amdhsa_next_free_vgpr 36
		.amdhsa_next_free_sgpr 8
		.amdhsa_accum_offset 36
		.amdhsa_reserve_vcc 1
		.amdhsa_reserve_flat_scratch 0
		.amdhsa_float_round_mode_32 0
		.amdhsa_float_round_mode_16_64 0
		.amdhsa_float_denorm_mode_32 3
		.amdhsa_float_denorm_mode_16_64 3
		.amdhsa_dx10_clamp 1
		.amdhsa_ieee_mode 1
		.amdhsa_fp16_overflow 0
		.amdhsa_tg_split 0
		.amdhsa_exception_fp_ieee_invalid_op 0
		.amdhsa_exception_fp_denorm_src 0
		.amdhsa_exception_fp_ieee_div_zero 0
		.amdhsa_exception_fp_ieee_overflow 0
		.amdhsa_exception_fp_ieee_underflow 0
		.amdhsa_exception_fp_ieee_inexact 0
		.amdhsa_exception_int_div_zero 0
	.end_amdhsa_kernel
	.section	.text._Z6kernelI13subtract_leftLj256ELj16ELb1EJPfS1_jEEvDpT3_,"axG",@progbits,_Z6kernelI13subtract_leftLj256ELj16ELb1EJPfS1_jEEvDpT3_,comdat
.Lfunc_end40:
	.size	_Z6kernelI13subtract_leftLj256ELj16ELb1EJPfS1_jEEvDpT3_, .Lfunc_end40-_Z6kernelI13subtract_leftLj256ELj16ELb1EJPfS1_jEEvDpT3_
                                        ; -- End function
	.section	.AMDGPU.csdata,"",@progbits
; Kernel info:
; codeLenInByte = 712
; NumSgprs: 12
; NumVgprs: 36
; NumAgprs: 0
; TotalNumVgprs: 36
; ScratchSize: 0
; MemoryBound: 0
; FloatMode: 240
; IeeeMode: 1
; LDSByteSize: 2048 bytes/workgroup (compile time only)
; SGPRBlocks: 1
; VGPRBlocks: 4
; NumSGPRsForWavesPerEU: 12
; NumVGPRsForWavesPerEU: 36
; AccumOffset: 36
; Occupancy: 8
; WaveLimiterHint : 1
; COMPUTE_PGM_RSRC2:SCRATCH_EN: 0
; COMPUTE_PGM_RSRC2:USER_SGPR: 6
; COMPUTE_PGM_RSRC2:TRAP_HANDLER: 0
; COMPUTE_PGM_RSRC2:TGID_X_EN: 1
; COMPUTE_PGM_RSRC2:TGID_Y_EN: 0
; COMPUTE_PGM_RSRC2:TGID_Z_EN: 0
; COMPUTE_PGM_RSRC2:TIDIG_COMP_CNT: 0
; COMPUTE_PGM_RSRC3_GFX90A:ACCUM_OFFSET: 8
; COMPUTE_PGM_RSRC3_GFX90A:TG_SPLIT: 0
	.section	.text._Z6kernelI13subtract_leftLj256ELj32ELb1EJPfS1_jEEvDpT3_,"axG",@progbits,_Z6kernelI13subtract_leftLj256ELj32ELb1EJPfS1_jEEvDpT3_,comdat
	.protected	_Z6kernelI13subtract_leftLj256ELj32ELb1EJPfS1_jEEvDpT3_ ; -- Begin function _Z6kernelI13subtract_leftLj256ELj32ELb1EJPfS1_jEEvDpT3_
	.globl	_Z6kernelI13subtract_leftLj256ELj32ELb1EJPfS1_jEEvDpT3_
	.p2align	8
	.type	_Z6kernelI13subtract_leftLj256ELj32ELb1EJPfS1_jEEvDpT3_,@function
_Z6kernelI13subtract_leftLj256ELj32ELb1EJPfS1_jEEvDpT3_: ; @_Z6kernelI13subtract_leftLj256ELj32ELb1EJPfS1_jEEvDpT3_
; %bb.0:
	s_load_dwordx4 s[0:3], s[4:5], 0x0
	s_load_dword s7, s[4:5], 0x10
	s_lshl_b32 s4, s6, 13
	s_mov_b32 s5, 0
	s_lshl_b64 s[4:5], s[4:5], 2
	s_waitcnt lgkmcnt(0)
	s_add_u32 s0, s0, s4
	s_addc_u32 s1, s1, s5
	v_lshlrev_b32_e32 v1, 2, v0
	v_mov_b32_e32 v2, s1
	v_add_co_u32_e32 v15, vcc, s0, v1
	v_addc_co_u32_e32 v18, vcc, 0, v2, vcc
	s_movk_i32 s6, 0x1000
	v_add_co_u32_e32 v6, vcc, s6, v15
	v_addc_co_u32_e32 v7, vcc, 0, v18, vcc
	s_movk_i32 s6, 0x2000
	;; [unrolled: 3-line block ×4, first 2 shown]
	v_add_co_u32_e32 v20, vcc, s6, v15
	v_addc_co_u32_e32 v21, vcc, 0, v18, vcc
	global_load_dword v26, v1, s[0:1]
	global_load_dword v27, v1, s[0:1] offset:1024
	global_load_dword v28, v1, s[0:1] offset:2048
	;; [unrolled: 1-line block ×3, first 2 shown]
	global_load_dword v19, v[6:7], off offset:1024
	global_load_dword v16, v[6:7], off offset:2048
	;; [unrolled: 1-line block ×4, first 2 shown]
	global_load_dword v10, v[34:35], off
	global_load_dword v11, v[34:35], off offset:1024
	global_load_dword v12, v[34:35], off offset:2048
	;; [unrolled: 1-line block ×3, first 2 shown]
	global_load_dword v4, v[20:21], off offset:-4096
	global_load_dword v2, v[20:21], off
	s_movk_i32 s0, 0x5000
	v_add_co_u32_e32 v38, vcc, s0, v15
	v_addc_co_u32_e32 v39, vcc, 0, v18, vcc
	s_movk_i32 s0, 0x6000
	v_add_co_u32_e32 v22, vcc, s0, v15
	v_addc_co_u32_e32 v23, vcc, 0, v18, vcc
	v_add_co_u32_e32 v40, vcc, 0x7000, v15
	global_load_dword v3, v[20:21], off offset:1024
	global_load_dword v24, v[20:21], off offset:2048
	;; [unrolled: 1-line block ×3, first 2 shown]
	global_load_dword v14, v[22:23], off offset:-4096
	global_load_dword v6, v[22:23], off
	global_load_dword v7, v[22:23], off offset:1024
	global_load_dword v8, v[22:23], off offset:2048
	;; [unrolled: 1-line block ×3, first 2 shown]
	v_addc_co_u32_e32 v41, vcc, 0, v18, vcc
	global_load_dword v32, v[36:37], off offset:2048
	global_load_dword v33, v[36:37], off offset:3072
	;; [unrolled: 1-line block ×5, first 2 shown]
	global_load_dword v20, v[40:41], off
	global_load_dword v21, v[40:41], off offset:1024
	global_load_dword v22, v[40:41], off offset:2048
	global_load_dword v18, v[34:35], off offset:-4096
	global_load_dword v23, v[40:41], off offset:3072
	s_cmp_eq_u32 s7, 0
	s_cbranch_scc1 .LBB41_5
; %bb.1:
	v_cmp_ne_u32_e32 vcc, 0, v0
	v_add_u32_e32 v0, -4, v1
	s_branch .LBB41_3
.LBB41_2:                               ;   in Loop: Header=BB41_3 Depth=1
	s_or_b64 exec, exec, s[0:1]
	v_pk_add_f32 v[60:61], v[26:27], v[26:27] op_sel_hi:[1,0] neg_lo:[0,1] neg_hi:[0,1]
	s_waitcnt lgkmcnt(0)
	v_sub_f32_e32 v60, v26, v34
	v_mov_b32_e32 v34, v27
	v_mov_b32_e32 v35, v28
	v_pk_add_f32 v[34:35], v[28:29], v[34:35] neg_lo:[0,1] neg_hi:[0,1]
	v_mov_b32_e32 v36, v21
	v_mov_b32_e32 v37, v22
	v_mov_b32_e32 v38, v9
	v_mov_b32_e32 v39, v20
	v_mov_b32_e32 v40, v7
	v_mov_b32_e32 v41, v8
	v_mov_b32_e32 v42, v31
	v_mov_b32_e32 v43, v6
	v_mov_b32_e32 v44, v15
	v_mov_b32_e32 v45, v30
	v_mov_b32_e32 v46, v25
	v_mov_b32_e32 v47, v14
	v_mov_b32_e32 v48, v3
	v_mov_b32_e32 v49, v24
	v_mov_b32_e32 v50, v33
	v_mov_b32_e32 v51, v2
	v_mov_b32_e32 v52, v5
	v_mov_b32_e32 v53, v32
	v_mov_b32_e32 v54, v13
	v_mov_b32_e32 v55, v4
	v_mov_b32_e32 v56, v11
	v_mov_b32_e32 v57, v12
	v_mov_b32_e32 v58, v17
	v_mov_b32_e32 v59, v10
	v_pk_add_f32 v[26:27], v[26:27], v[60:61]
	v_mov_b32_e32 v60, v29
	v_pk_add_f32 v[28:29], v[28:29], v[34:35]
	v_mov_b32_e32 v34, v19
	v_mov_b32_e32 v35, v16
	;; [unrolled: 1-line block ×3, first 2 shown]
	v_pk_add_f32 v[36:37], v[22:23], v[36:37] neg_lo:[0,1] neg_hi:[0,1]
	v_pk_add_f32 v[38:39], v[20:21], v[38:39] neg_lo:[0,1] neg_hi:[0,1]
	v_pk_add_f32 v[40:41], v[8:9], v[40:41] neg_lo:[0,1] neg_hi:[0,1]
	v_pk_add_f32 v[42:43], v[6:7], v[42:43] neg_lo:[0,1] neg_hi:[0,1]
	v_pk_add_f32 v[44:45], v[30:31], v[44:45] neg_lo:[0,1] neg_hi:[0,1]
	v_pk_add_f32 v[46:47], v[14:15], v[46:47] neg_lo:[0,1] neg_hi:[0,1]
	v_pk_add_f32 v[48:49], v[24:25], v[48:49] neg_lo:[0,1] neg_hi:[0,1]
	v_pk_add_f32 v[50:51], v[2:3], v[50:51] neg_lo:[0,1] neg_hi:[0,1]
	v_pk_add_f32 v[52:53], v[32:33], v[52:53] neg_lo:[0,1] neg_hi:[0,1]
	v_pk_add_f32 v[54:55], v[4:5], v[54:55] neg_lo:[0,1] neg_hi:[0,1]
	v_pk_add_f32 v[56:57], v[12:13], v[56:57] neg_lo:[0,1] neg_hi:[0,1]
	v_pk_add_f32 v[58:59], v[10:11], v[58:59] neg_lo:[0,1] neg_hi:[0,1]
	v_pk_add_f32 v[34:35], v[16:17], v[34:35] neg_lo:[0,1] neg_hi:[0,1]
	v_pk_add_f32 v[60:61], v[18:19], v[60:61] neg_lo:[0,1] neg_hi:[0,1]
	s_add_i32 s7, s7, -1
	v_pk_add_f32 v[18:19], v[18:19], v[60:61]
	v_pk_add_f32 v[16:17], v[16:17], v[34:35]
	;; [unrolled: 1-line block ×14, first 2 shown]
	s_cmp_lg_u32 s7, 0
	s_barrier
	s_cbranch_scc0 .LBB41_5
.LBB41_3:                               ; =>This Inner Loop Header: Depth=1
	v_mov_b32_e32 v34, 0x42f60000
	s_waitcnt vmcnt(0)
	ds_write_b32 v1, v23
	s_waitcnt lgkmcnt(0)
	s_barrier
	s_and_saveexec_b64 s[0:1], vcc
	s_cbranch_execz .LBB41_2
; %bb.4:                                ;   in Loop: Header=BB41_3 Depth=1
	ds_read_b32 v34, v0
	s_branch .LBB41_2
.LBB41_5:
	s_add_u32 s0, s2, s4
	s_addc_u32 s1, s3, s5
	v_mov_b32_e32 v0, s1
	v_add_co_u32_e32 v34, vcc, s0, v1
	v_addc_co_u32_e32 v35, vcc, 0, v0, vcc
	v_add_co_u32_e32 v0, vcc, 0x1000, v34
	s_waitcnt vmcnt(31)
	global_store_dword v1, v26, s[0:1]
	s_waitcnt vmcnt(31)
	global_store_dword v1, v27, s[0:1] offset:1024
	s_waitcnt vmcnt(31)
	global_store_dword v1, v28, s[0:1] offset:2048
	;; [unrolled: 2-line block ×3, first 2 shown]
	v_addc_co_u32_e32 v1, vcc, 0, v35, vcc
	s_waitcnt vmcnt(5)
	global_store_dword v[0:1], v18, off
	global_store_dword v[0:1], v19, off offset:1024
	global_store_dword v[0:1], v16, off offset:2048
	global_store_dword v[0:1], v17, off offset:3072
	v_add_co_u32_e32 v0, vcc, 0x2000, v34
	v_addc_co_u32_e32 v1, vcc, 0, v35, vcc
	global_store_dword v[0:1], v10, off
	global_store_dword v[0:1], v11, off offset:1024
	global_store_dword v[0:1], v12, off offset:2048
	global_store_dword v[0:1], v13, off offset:3072
	v_add_co_u32_e32 v0, vcc, 0x3000, v34
	v_addc_co_u32_e32 v1, vcc, 0, v35, vcc
	;; [unrolled: 6-line block ×6, first 2 shown]
	global_store_dword v[0:1], v20, off
	global_store_dword v[0:1], v21, off offset:1024
	global_store_dword v[0:1], v22, off offset:2048
	s_waitcnt vmcnt(31)
	global_store_dword v[0:1], v23, off offset:3072
	s_endpgm
	.section	.rodata,"a",@progbits
	.p2align	6, 0x0
	.amdhsa_kernel _Z6kernelI13subtract_leftLj256ELj32ELb1EJPfS1_jEEvDpT3_
		.amdhsa_group_segment_fixed_size 2048
		.amdhsa_private_segment_fixed_size 0
		.amdhsa_kernarg_size 20
		.amdhsa_user_sgpr_count 6
		.amdhsa_user_sgpr_private_segment_buffer 1
		.amdhsa_user_sgpr_dispatch_ptr 0
		.amdhsa_user_sgpr_queue_ptr 0
		.amdhsa_user_sgpr_kernarg_segment_ptr 1
		.amdhsa_user_sgpr_dispatch_id 0
		.amdhsa_user_sgpr_flat_scratch_init 0
		.amdhsa_user_sgpr_kernarg_preload_length 0
		.amdhsa_user_sgpr_kernarg_preload_offset 0
		.amdhsa_user_sgpr_private_segment_size 0
		.amdhsa_uses_dynamic_stack 0
		.amdhsa_system_sgpr_private_segment_wavefront_offset 0
		.amdhsa_system_sgpr_workgroup_id_x 1
		.amdhsa_system_sgpr_workgroup_id_y 0
		.amdhsa_system_sgpr_workgroup_id_z 0
		.amdhsa_system_sgpr_workgroup_info 0
		.amdhsa_system_vgpr_workitem_id 0
		.amdhsa_next_free_vgpr 62
		.amdhsa_next_free_sgpr 8
		.amdhsa_accum_offset 64
		.amdhsa_reserve_vcc 1
		.amdhsa_reserve_flat_scratch 0
		.amdhsa_float_round_mode_32 0
		.amdhsa_float_round_mode_16_64 0
		.amdhsa_float_denorm_mode_32 3
		.amdhsa_float_denorm_mode_16_64 3
		.amdhsa_dx10_clamp 1
		.amdhsa_ieee_mode 1
		.amdhsa_fp16_overflow 0
		.amdhsa_tg_split 0
		.amdhsa_exception_fp_ieee_invalid_op 0
		.amdhsa_exception_fp_denorm_src 0
		.amdhsa_exception_fp_ieee_div_zero 0
		.amdhsa_exception_fp_ieee_overflow 0
		.amdhsa_exception_fp_ieee_underflow 0
		.amdhsa_exception_fp_ieee_inexact 0
		.amdhsa_exception_int_div_zero 0
	.end_amdhsa_kernel
	.section	.text._Z6kernelI13subtract_leftLj256ELj32ELb1EJPfS1_jEEvDpT3_,"axG",@progbits,_Z6kernelI13subtract_leftLj256ELj32ELb1EJPfS1_jEEvDpT3_,comdat
.Lfunc_end41:
	.size	_Z6kernelI13subtract_leftLj256ELj32ELb1EJPfS1_jEEvDpT3_, .Lfunc_end41-_Z6kernelI13subtract_leftLj256ELj32ELb1EJPfS1_jEEvDpT3_
                                        ; -- End function
	.section	.AMDGPU.csdata,"",@progbits
; Kernel info:
; codeLenInByte = 1256
; NumSgprs: 12
; NumVgprs: 62
; NumAgprs: 0
; TotalNumVgprs: 62
; ScratchSize: 0
; MemoryBound: 0
; FloatMode: 240
; IeeeMode: 1
; LDSByteSize: 2048 bytes/workgroup (compile time only)
; SGPRBlocks: 1
; VGPRBlocks: 7
; NumSGPRsForWavesPerEU: 12
; NumVGPRsForWavesPerEU: 62
; AccumOffset: 64
; Occupancy: 8
; WaveLimiterHint : 1
; COMPUTE_PGM_RSRC2:SCRATCH_EN: 0
; COMPUTE_PGM_RSRC2:USER_SGPR: 6
; COMPUTE_PGM_RSRC2:TRAP_HANDLER: 0
; COMPUTE_PGM_RSRC2:TGID_X_EN: 1
; COMPUTE_PGM_RSRC2:TGID_Y_EN: 0
; COMPUTE_PGM_RSRC2:TGID_Z_EN: 0
; COMPUTE_PGM_RSRC2:TIDIG_COMP_CNT: 0
; COMPUTE_PGM_RSRC3_GFX90A:ACCUM_OFFSET: 15
; COMPUTE_PGM_RSRC3_GFX90A:TG_SPLIT: 0
	.section	.text._Z6kernelI13subtract_leftLj256ELj1ELb1EJPaS1_jEEvDpT3_,"axG",@progbits,_Z6kernelI13subtract_leftLj256ELj1ELb1EJPaS1_jEEvDpT3_,comdat
	.protected	_Z6kernelI13subtract_leftLj256ELj1ELb1EJPaS1_jEEvDpT3_ ; -- Begin function _Z6kernelI13subtract_leftLj256ELj1ELb1EJPaS1_jEEvDpT3_
	.globl	_Z6kernelI13subtract_leftLj256ELj1ELb1EJPaS1_jEEvDpT3_
	.p2align	8
	.type	_Z6kernelI13subtract_leftLj256ELj1ELb1EJPaS1_jEEvDpT3_,@function
_Z6kernelI13subtract_leftLj256ELj1ELb1EJPaS1_jEEvDpT3_: ; @_Z6kernelI13subtract_leftLj256ELj1ELb1EJPaS1_jEEvDpT3_
; %bb.0:
	s_load_dwordx4 s[0:3], s[4:5], 0x0
	s_load_dword s7, s[4:5], 0x10
	s_lshl_b32 s4, s6, 8
	s_waitcnt lgkmcnt(0)
	s_add_u32 s0, s0, s4
	s_addc_u32 s1, s1, 0
	global_load_ubyte v1, v0, s[0:1]
	s_cmp_eq_u32 s7, 0
	s_cbranch_scc1 .LBB42_5
; %bb.1:
	v_cmp_ne_u32_e32 vcc, 0, v0
	v_add_u32_e32 v2, -1, v0
	s_branch .LBB42_3
.LBB42_2:                               ;   in Loop: Header=BB42_3 Depth=1
	s_or_b64 exec, exec, s[0:1]
	v_lshlrev_b16_e32 v1, 1, v1
	s_add_i32 s7, s7, -1
	s_waitcnt lgkmcnt(0)
	v_sub_u16_e32 v1, v1, v3
	s_cmp_lg_u32 s7, 0
	s_barrier
	s_cbranch_scc0 .LBB42_5
.LBB42_3:                               ; =>This Inner Loop Header: Depth=1
	v_mov_b32_e32 v3, 0x7b
	s_waitcnt vmcnt(0)
	ds_write_b8 v0, v1
	s_waitcnt lgkmcnt(0)
	s_barrier
	s_and_saveexec_b64 s[0:1], vcc
	s_cbranch_execz .LBB42_2
; %bb.4:                                ;   in Loop: Header=BB42_3 Depth=1
	ds_read_u8 v3, v2
	s_branch .LBB42_2
.LBB42_5:
	s_add_u32 s0, s2, s4
	s_addc_u32 s1, s3, 0
	v_mov_b32_e32 v3, s1
	v_add_co_u32_e32 v2, vcc, s0, v0
	v_addc_co_u32_e32 v3, vcc, 0, v3, vcc
	s_waitcnt vmcnt(0)
	global_store_byte v[2:3], v1, off
	s_endpgm
	.section	.rodata,"a",@progbits
	.p2align	6, 0x0
	.amdhsa_kernel _Z6kernelI13subtract_leftLj256ELj1ELb1EJPaS1_jEEvDpT3_
		.amdhsa_group_segment_fixed_size 512
		.amdhsa_private_segment_fixed_size 0
		.amdhsa_kernarg_size 20
		.amdhsa_user_sgpr_count 6
		.amdhsa_user_sgpr_private_segment_buffer 1
		.amdhsa_user_sgpr_dispatch_ptr 0
		.amdhsa_user_sgpr_queue_ptr 0
		.amdhsa_user_sgpr_kernarg_segment_ptr 1
		.amdhsa_user_sgpr_dispatch_id 0
		.amdhsa_user_sgpr_flat_scratch_init 0
		.amdhsa_user_sgpr_kernarg_preload_length 0
		.amdhsa_user_sgpr_kernarg_preload_offset 0
		.amdhsa_user_sgpr_private_segment_size 0
		.amdhsa_uses_dynamic_stack 0
		.amdhsa_system_sgpr_private_segment_wavefront_offset 0
		.amdhsa_system_sgpr_workgroup_id_x 1
		.amdhsa_system_sgpr_workgroup_id_y 0
		.amdhsa_system_sgpr_workgroup_id_z 0
		.amdhsa_system_sgpr_workgroup_info 0
		.amdhsa_system_vgpr_workitem_id 0
		.amdhsa_next_free_vgpr 4
		.amdhsa_next_free_sgpr 8
		.amdhsa_accum_offset 4
		.amdhsa_reserve_vcc 1
		.amdhsa_reserve_flat_scratch 0
		.amdhsa_float_round_mode_32 0
		.amdhsa_float_round_mode_16_64 0
		.amdhsa_float_denorm_mode_32 3
		.amdhsa_float_denorm_mode_16_64 3
		.amdhsa_dx10_clamp 1
		.amdhsa_ieee_mode 1
		.amdhsa_fp16_overflow 0
		.amdhsa_tg_split 0
		.amdhsa_exception_fp_ieee_invalid_op 0
		.amdhsa_exception_fp_denorm_src 0
		.amdhsa_exception_fp_ieee_div_zero 0
		.amdhsa_exception_fp_ieee_overflow 0
		.amdhsa_exception_fp_ieee_underflow 0
		.amdhsa_exception_fp_ieee_inexact 0
		.amdhsa_exception_int_div_zero 0
	.end_amdhsa_kernel
	.section	.text._Z6kernelI13subtract_leftLj256ELj1ELb1EJPaS1_jEEvDpT3_,"axG",@progbits,_Z6kernelI13subtract_leftLj256ELj1ELb1EJPaS1_jEEvDpT3_,comdat
.Lfunc_end42:
	.size	_Z6kernelI13subtract_leftLj256ELj1ELb1EJPaS1_jEEvDpT3_, .Lfunc_end42-_Z6kernelI13subtract_leftLj256ELj1ELb1EJPaS1_jEEvDpT3_
                                        ; -- End function
	.section	.AMDGPU.csdata,"",@progbits
; Kernel info:
; codeLenInByte = 176
; NumSgprs: 12
; NumVgprs: 4
; NumAgprs: 0
; TotalNumVgprs: 4
; ScratchSize: 0
; MemoryBound: 0
; FloatMode: 240
; IeeeMode: 1
; LDSByteSize: 512 bytes/workgroup (compile time only)
; SGPRBlocks: 1
; VGPRBlocks: 0
; NumSGPRsForWavesPerEU: 12
; NumVGPRsForWavesPerEU: 4
; AccumOffset: 4
; Occupancy: 8
; WaveLimiterHint : 0
; COMPUTE_PGM_RSRC2:SCRATCH_EN: 0
; COMPUTE_PGM_RSRC2:USER_SGPR: 6
; COMPUTE_PGM_RSRC2:TRAP_HANDLER: 0
; COMPUTE_PGM_RSRC2:TGID_X_EN: 1
; COMPUTE_PGM_RSRC2:TGID_Y_EN: 0
; COMPUTE_PGM_RSRC2:TGID_Z_EN: 0
; COMPUTE_PGM_RSRC2:TIDIG_COMP_CNT: 0
; COMPUTE_PGM_RSRC3_GFX90A:ACCUM_OFFSET: 0
; COMPUTE_PGM_RSRC3_GFX90A:TG_SPLIT: 0
	.section	.text._Z6kernelI13subtract_leftLj256ELj3ELb1EJPaS1_jEEvDpT3_,"axG",@progbits,_Z6kernelI13subtract_leftLj256ELj3ELb1EJPaS1_jEEvDpT3_,comdat
	.protected	_Z6kernelI13subtract_leftLj256ELj3ELb1EJPaS1_jEEvDpT3_ ; -- Begin function _Z6kernelI13subtract_leftLj256ELj3ELb1EJPaS1_jEEvDpT3_
	.globl	_Z6kernelI13subtract_leftLj256ELj3ELb1EJPaS1_jEEvDpT3_
	.p2align	8
	.type	_Z6kernelI13subtract_leftLj256ELj3ELb1EJPaS1_jEEvDpT3_,@function
_Z6kernelI13subtract_leftLj256ELj3ELb1EJPaS1_jEEvDpT3_: ; @_Z6kernelI13subtract_leftLj256ELj3ELb1EJPaS1_jEEvDpT3_
; %bb.0:
	s_load_dwordx4 s[0:3], s[4:5], 0x0
	s_load_dword s7, s[4:5], 0x10
	s_mul_i32 s4, s6, 0x300
	s_waitcnt lgkmcnt(0)
	s_add_u32 s0, s0, s4
	s_addc_u32 s1, s1, 0
	global_load_ubyte v1, v0, s[0:1] offset:256
	global_load_ubyte v2, v0, s[0:1]
	global_load_ubyte v3, v0, s[0:1] offset:512
	s_cmp_eq_u32 s7, 0
	s_waitcnt vmcnt(2)
	v_lshlrev_b16_e32 v1, 8, v1
	s_waitcnt vmcnt(1)
	v_or_b32_e32 v1, v2, v1
	v_and_b32_e32 v1, 0xffff, v1
	s_waitcnt vmcnt(0)
	v_lshl_or_b32 v1, v3, 16, v1
	s_cbranch_scc1 .LBB43_5
; %bb.1:
	v_cmp_ne_u32_e32 vcc, 0, v0
	v_add_u32_e32 v2, -1, v0
	s_branch .LBB43_3
.LBB43_2:                               ;   in Loop: Header=BB43_3 Depth=1
	s_or_b64 exec, exec, s[0:1]
	v_lshrrev_b32_e32 v5, 8, v1
	v_lshlrev_b16_e32 v6, 1, v1
	v_lshlrev_b16_e32 v3, 1, v3
	s_waitcnt lgkmcnt(0)
	v_sub_u16_e32 v4, v6, v4
	v_lshlrev_b16_e32 v6, 1, v5
	v_sub_u16_e32 v3, v3, v5
	v_sub_u16_sdwa v1, v6, v1 dst_sel:BYTE_1 dst_unused:UNUSED_PAD src0_sel:DWORD src1_sel:DWORD
	v_and_b32_e32 v3, 0xff, v3
	v_or_b32_sdwa v1, v4, v1 dst_sel:DWORD dst_unused:UNUSED_PAD src0_sel:BYTE_0 src1_sel:DWORD
	v_lshlrev_b32_e32 v3, 16, v3
	s_add_i32 s7, s7, -1
	v_or_b32_sdwa v1, v1, v3 dst_sel:DWORD dst_unused:UNUSED_PAD src0_sel:WORD_0 src1_sel:DWORD
	s_cmp_lg_u32 s7, 0
	s_barrier
	s_cbranch_scc0 .LBB43_5
.LBB43_3:                               ; =>This Inner Loop Header: Depth=1
	v_lshrrev_b32_e32 v3, 16, v1
	v_mov_b32_e32 v4, 0x7b
	ds_write_b8 v0, v3
	s_waitcnt lgkmcnt(0)
	s_barrier
	s_and_saveexec_b64 s[0:1], vcc
	s_cbranch_execz .LBB43_2
; %bb.4:                                ;   in Loop: Header=BB43_3 Depth=1
	ds_read_u8 v4, v2
	s_branch .LBB43_2
.LBB43_5:
	s_add_u32 s0, s2, s4
	s_addc_u32 s1, s3, 0
	v_mov_b32_e32 v3, s1
	v_add_co_u32_e32 v2, vcc, s0, v0
	v_addc_co_u32_e32 v3, vcc, 0, v3, vcc
	v_lshrrev_b32_e32 v0, 8, v1
	global_store_byte v[2:3], v1, off
	global_store_byte v[2:3], v0, off offset:256
	global_store_byte_d16_hi v[2:3], v1, off offset:512
	s_endpgm
	.section	.rodata,"a",@progbits
	.p2align	6, 0x0
	.amdhsa_kernel _Z6kernelI13subtract_leftLj256ELj3ELb1EJPaS1_jEEvDpT3_
		.amdhsa_group_segment_fixed_size 512
		.amdhsa_private_segment_fixed_size 0
		.amdhsa_kernarg_size 20
		.amdhsa_user_sgpr_count 6
		.amdhsa_user_sgpr_private_segment_buffer 1
		.amdhsa_user_sgpr_dispatch_ptr 0
		.amdhsa_user_sgpr_queue_ptr 0
		.amdhsa_user_sgpr_kernarg_segment_ptr 1
		.amdhsa_user_sgpr_dispatch_id 0
		.amdhsa_user_sgpr_flat_scratch_init 0
		.amdhsa_user_sgpr_kernarg_preload_length 0
		.amdhsa_user_sgpr_kernarg_preload_offset 0
		.amdhsa_user_sgpr_private_segment_size 0
		.amdhsa_uses_dynamic_stack 0
		.amdhsa_system_sgpr_private_segment_wavefront_offset 0
		.amdhsa_system_sgpr_workgroup_id_x 1
		.amdhsa_system_sgpr_workgroup_id_y 0
		.amdhsa_system_sgpr_workgroup_id_z 0
		.amdhsa_system_sgpr_workgroup_info 0
		.amdhsa_system_vgpr_workitem_id 0
		.amdhsa_next_free_vgpr 7
		.amdhsa_next_free_sgpr 8
		.amdhsa_accum_offset 8
		.amdhsa_reserve_vcc 1
		.amdhsa_reserve_flat_scratch 0
		.amdhsa_float_round_mode_32 0
		.amdhsa_float_round_mode_16_64 0
		.amdhsa_float_denorm_mode_32 3
		.amdhsa_float_denorm_mode_16_64 3
		.amdhsa_dx10_clamp 1
		.amdhsa_ieee_mode 1
		.amdhsa_fp16_overflow 0
		.amdhsa_tg_split 0
		.amdhsa_exception_fp_ieee_invalid_op 0
		.amdhsa_exception_fp_denorm_src 0
		.amdhsa_exception_fp_ieee_div_zero 0
		.amdhsa_exception_fp_ieee_overflow 0
		.amdhsa_exception_fp_ieee_underflow 0
		.amdhsa_exception_fp_ieee_inexact 0
		.amdhsa_exception_int_div_zero 0
	.end_amdhsa_kernel
	.section	.text._Z6kernelI13subtract_leftLj256ELj3ELb1EJPaS1_jEEvDpT3_,"axG",@progbits,_Z6kernelI13subtract_leftLj256ELj3ELb1EJPaS1_jEEvDpT3_,comdat
.Lfunc_end43:
	.size	_Z6kernelI13subtract_leftLj256ELj3ELb1EJPaS1_jEEvDpT3_, .Lfunc_end43-_Z6kernelI13subtract_leftLj256ELj3ELb1EJPaS1_jEEvDpT3_
                                        ; -- End function
	.section	.AMDGPU.csdata,"",@progbits
; Kernel info:
; codeLenInByte = 300
; NumSgprs: 12
; NumVgprs: 7
; NumAgprs: 0
; TotalNumVgprs: 7
; ScratchSize: 0
; MemoryBound: 0
; FloatMode: 240
; IeeeMode: 1
; LDSByteSize: 512 bytes/workgroup (compile time only)
; SGPRBlocks: 1
; VGPRBlocks: 0
; NumSGPRsForWavesPerEU: 12
; NumVGPRsForWavesPerEU: 7
; AccumOffset: 8
; Occupancy: 8
; WaveLimiterHint : 1
; COMPUTE_PGM_RSRC2:SCRATCH_EN: 0
; COMPUTE_PGM_RSRC2:USER_SGPR: 6
; COMPUTE_PGM_RSRC2:TRAP_HANDLER: 0
; COMPUTE_PGM_RSRC2:TGID_X_EN: 1
; COMPUTE_PGM_RSRC2:TGID_Y_EN: 0
; COMPUTE_PGM_RSRC2:TGID_Z_EN: 0
; COMPUTE_PGM_RSRC2:TIDIG_COMP_CNT: 0
; COMPUTE_PGM_RSRC3_GFX90A:ACCUM_OFFSET: 1
; COMPUTE_PGM_RSRC3_GFX90A:TG_SPLIT: 0
	.section	.text._Z6kernelI13subtract_leftLj256ELj4ELb1EJPaS1_jEEvDpT3_,"axG",@progbits,_Z6kernelI13subtract_leftLj256ELj4ELb1EJPaS1_jEEvDpT3_,comdat
	.protected	_Z6kernelI13subtract_leftLj256ELj4ELb1EJPaS1_jEEvDpT3_ ; -- Begin function _Z6kernelI13subtract_leftLj256ELj4ELb1EJPaS1_jEEvDpT3_
	.globl	_Z6kernelI13subtract_leftLj256ELj4ELb1EJPaS1_jEEvDpT3_
	.p2align	8
	.type	_Z6kernelI13subtract_leftLj256ELj4ELb1EJPaS1_jEEvDpT3_,@function
_Z6kernelI13subtract_leftLj256ELj4ELb1EJPaS1_jEEvDpT3_: ; @_Z6kernelI13subtract_leftLj256ELj4ELb1EJPaS1_jEEvDpT3_
; %bb.0:
	s_load_dwordx4 s[0:3], s[4:5], 0x0
	s_load_dword s7, s[4:5], 0x10
	s_lshl_b32 s4, s6, 10
	s_waitcnt lgkmcnt(0)
	s_add_u32 s0, s0, s4
	s_addc_u32 s1, s1, 0
	global_load_ubyte v1, v0, s[0:1] offset:256
	global_load_ubyte v2, v0, s[0:1] offset:768
	global_load_ubyte v3, v0, s[0:1]
	global_load_ubyte v4, v0, s[0:1] offset:512
	s_cmp_eq_u32 s7, 0
	s_waitcnt vmcnt(3)
	v_lshlrev_b16_e32 v1, 8, v1
	s_waitcnt vmcnt(2)
	v_lshlrev_b16_e32 v2, 8, v2
	s_waitcnt vmcnt(1)
	v_or_b32_e32 v1, v3, v1
	s_waitcnt vmcnt(0)
	v_or_b32_sdwa v2, v4, v2 dst_sel:WORD_1 dst_unused:UNUSED_PAD src0_sel:DWORD src1_sel:DWORD
	v_or_b32_sdwa v1, v1, v2 dst_sel:DWORD dst_unused:UNUSED_PAD src0_sel:WORD_0 src1_sel:DWORD
	s_cbranch_scc1 .LBB44_5
; %bb.1:
	v_cmp_ne_u32_e32 vcc, 0, v0
	v_add_u32_e32 v2, -1, v0
	v_mov_b32_e32 v3, 1
	s_branch .LBB44_3
.LBB44_2:                               ;   in Loop: Header=BB44_3 Depth=1
	s_or_b64 exec, exec, s[0:1]
	v_lshrrev_b32_e32 v6, 8, v1
	v_lshlrev_b16_e32 v7, 1, v1
	s_waitcnt lgkmcnt(0)
	v_sub_u16_e32 v5, v7, v5
	v_lshlrev_b16_e32 v7, 1, v6
	v_lshlrev_b16_sdwa v8, v3, v1 dst_sel:DWORD dst_unused:UNUSED_PAD src0_sel:DWORD src1_sel:WORD_1
	v_lshlrev_b16_e32 v4, 1, v4
	v_sub_u16_sdwa v7, v7, v1 dst_sel:BYTE_1 dst_unused:UNUSED_PAD src0_sel:DWORD src1_sel:DWORD
	v_sub_u16_e32 v6, v8, v6
	v_sub_u16_sdwa v1, v4, v1 dst_sel:BYTE_1 dst_unused:UNUSED_PAD src0_sel:DWORD src1_sel:WORD_1
	v_or_b32_sdwa v1, v6, v1 dst_sel:WORD_1 dst_unused:UNUSED_PAD src0_sel:BYTE_0 src1_sel:DWORD
	v_or_b32_sdwa v4, v5, v7 dst_sel:DWORD dst_unused:UNUSED_PAD src0_sel:BYTE_0 src1_sel:DWORD
	s_add_i32 s7, s7, -1
	v_or_b32_sdwa v1, v4, v1 dst_sel:DWORD dst_unused:UNUSED_PAD src0_sel:WORD_0 src1_sel:DWORD
	s_cmp_lg_u32 s7, 0
	s_barrier
	s_cbranch_scc0 .LBB44_5
.LBB44_3:                               ; =>This Inner Loop Header: Depth=1
	v_lshrrev_b32_e32 v4, 24, v1
	v_mov_b32_e32 v5, 0x7b
	ds_write_b8 v0, v4
	s_waitcnt lgkmcnt(0)
	s_barrier
	s_and_saveexec_b64 s[0:1], vcc
	s_cbranch_execz .LBB44_2
; %bb.4:                                ;   in Loop: Header=BB44_3 Depth=1
	ds_read_u8 v5, v2
	s_branch .LBB44_2
.LBB44_5:
	s_add_u32 s0, s2, s4
	s_addc_u32 s1, s3, 0
	v_mov_b32_e32 v3, s1
	v_add_co_u32_e32 v2, vcc, s0, v0
	v_addc_co_u32_e32 v3, vcc, 0, v3, vcc
	v_lshrrev_b32_e32 v0, 8, v1
	global_store_byte v[2:3], v1, off
	global_store_byte v[2:3], v0, off offset:256
	global_store_byte_d16_hi v[2:3], v1, off offset:512
	v_lshrrev_b32_e32 v0, 24, v1
	global_store_byte v[2:3], v0, off offset:768
	s_endpgm
	.section	.rodata,"a",@progbits
	.p2align	6, 0x0
	.amdhsa_kernel _Z6kernelI13subtract_leftLj256ELj4ELb1EJPaS1_jEEvDpT3_
		.amdhsa_group_segment_fixed_size 512
		.amdhsa_private_segment_fixed_size 0
		.amdhsa_kernarg_size 20
		.amdhsa_user_sgpr_count 6
		.amdhsa_user_sgpr_private_segment_buffer 1
		.amdhsa_user_sgpr_dispatch_ptr 0
		.amdhsa_user_sgpr_queue_ptr 0
		.amdhsa_user_sgpr_kernarg_segment_ptr 1
		.amdhsa_user_sgpr_dispatch_id 0
		.amdhsa_user_sgpr_flat_scratch_init 0
		.amdhsa_user_sgpr_kernarg_preload_length 0
		.amdhsa_user_sgpr_kernarg_preload_offset 0
		.amdhsa_user_sgpr_private_segment_size 0
		.amdhsa_uses_dynamic_stack 0
		.amdhsa_system_sgpr_private_segment_wavefront_offset 0
		.amdhsa_system_sgpr_workgroup_id_x 1
		.amdhsa_system_sgpr_workgroup_id_y 0
		.amdhsa_system_sgpr_workgroup_id_z 0
		.amdhsa_system_sgpr_workgroup_info 0
		.amdhsa_system_vgpr_workitem_id 0
		.amdhsa_next_free_vgpr 9
		.amdhsa_next_free_sgpr 8
		.amdhsa_accum_offset 12
		.amdhsa_reserve_vcc 1
		.amdhsa_reserve_flat_scratch 0
		.amdhsa_float_round_mode_32 0
		.amdhsa_float_round_mode_16_64 0
		.amdhsa_float_denorm_mode_32 3
		.amdhsa_float_denorm_mode_16_64 3
		.amdhsa_dx10_clamp 1
		.amdhsa_ieee_mode 1
		.amdhsa_fp16_overflow 0
		.amdhsa_tg_split 0
		.amdhsa_exception_fp_ieee_invalid_op 0
		.amdhsa_exception_fp_denorm_src 0
		.amdhsa_exception_fp_ieee_div_zero 0
		.amdhsa_exception_fp_ieee_overflow 0
		.amdhsa_exception_fp_ieee_underflow 0
		.amdhsa_exception_fp_ieee_inexact 0
		.amdhsa_exception_int_div_zero 0
	.end_amdhsa_kernel
	.section	.text._Z6kernelI13subtract_leftLj256ELj4ELb1EJPaS1_jEEvDpT3_,"axG",@progbits,_Z6kernelI13subtract_leftLj256ELj4ELb1EJPaS1_jEEvDpT3_,comdat
.Lfunc_end44:
	.size	_Z6kernelI13subtract_leftLj256ELj4ELb1EJPaS1_jEEvDpT3_, .Lfunc_end44-_Z6kernelI13subtract_leftLj256ELj4ELb1EJPaS1_jEEvDpT3_
                                        ; -- End function
	.section	.AMDGPU.csdata,"",@progbits
; Kernel info:
; codeLenInByte = 340
; NumSgprs: 12
; NumVgprs: 9
; NumAgprs: 0
; TotalNumVgprs: 9
; ScratchSize: 0
; MemoryBound: 0
; FloatMode: 240
; IeeeMode: 1
; LDSByteSize: 512 bytes/workgroup (compile time only)
; SGPRBlocks: 1
; VGPRBlocks: 1
; NumSGPRsForWavesPerEU: 12
; NumVGPRsForWavesPerEU: 9
; AccumOffset: 12
; Occupancy: 8
; WaveLimiterHint : 1
; COMPUTE_PGM_RSRC2:SCRATCH_EN: 0
; COMPUTE_PGM_RSRC2:USER_SGPR: 6
; COMPUTE_PGM_RSRC2:TRAP_HANDLER: 0
; COMPUTE_PGM_RSRC2:TGID_X_EN: 1
; COMPUTE_PGM_RSRC2:TGID_Y_EN: 0
; COMPUTE_PGM_RSRC2:TGID_Z_EN: 0
; COMPUTE_PGM_RSRC2:TIDIG_COMP_CNT: 0
; COMPUTE_PGM_RSRC3_GFX90A:ACCUM_OFFSET: 2
; COMPUTE_PGM_RSRC3_GFX90A:TG_SPLIT: 0
	.section	.text._Z6kernelI13subtract_leftLj256ELj8ELb1EJPaS1_jEEvDpT3_,"axG",@progbits,_Z6kernelI13subtract_leftLj256ELj8ELb1EJPaS1_jEEvDpT3_,comdat
	.protected	_Z6kernelI13subtract_leftLj256ELj8ELb1EJPaS1_jEEvDpT3_ ; -- Begin function _Z6kernelI13subtract_leftLj256ELj8ELb1EJPaS1_jEEvDpT3_
	.globl	_Z6kernelI13subtract_leftLj256ELj8ELb1EJPaS1_jEEvDpT3_
	.p2align	8
	.type	_Z6kernelI13subtract_leftLj256ELj8ELb1EJPaS1_jEEvDpT3_,@function
_Z6kernelI13subtract_leftLj256ELj8ELb1EJPaS1_jEEvDpT3_: ; @_Z6kernelI13subtract_leftLj256ELj8ELb1EJPaS1_jEEvDpT3_
; %bb.0:
	s_load_dwordx4 s[0:3], s[4:5], 0x0
	s_load_dword s7, s[4:5], 0x10
	s_lshl_b32 s4, s6, 11
	s_waitcnt lgkmcnt(0)
	s_add_u32 s0, s0, s4
	s_addc_u32 s1, s1, 0
	global_load_ubyte v1, v0, s[0:1] offset:256
	global_load_ubyte v2, v0, s[0:1] offset:768
	;; [unrolled: 1-line block ×4, first 2 shown]
	global_load_ubyte v5, v0, s[0:1]
	global_load_ubyte v6, v0, s[0:1] offset:512
	global_load_ubyte v7, v0, s[0:1] offset:1024
	;; [unrolled: 1-line block ×3, first 2 shown]
	s_cmp_eq_u32 s7, 0
	s_waitcnt vmcnt(7)
	v_lshlrev_b16_e32 v1, 8, v1
	s_waitcnt vmcnt(6)
	v_lshlrev_b16_e32 v2, 8, v2
	;; [unrolled: 2-line block ×4, first 2 shown]
	s_waitcnt vmcnt(3)
	v_or_b32_e32 v1, v5, v1
	s_waitcnt vmcnt(2)
	v_or_b32_sdwa v2, v6, v2 dst_sel:WORD_1 dst_unused:UNUSED_PAD src0_sel:DWORD src1_sel:DWORD
	s_waitcnt vmcnt(1)
	v_or_b32_e32 v3, v7, v3
	s_waitcnt vmcnt(0)
	v_or_b32_sdwa v4, v8, v4 dst_sel:WORD_1 dst_unused:UNUSED_PAD src0_sel:DWORD src1_sel:DWORD
	v_or_b32_sdwa v2, v1, v2 dst_sel:DWORD dst_unused:UNUSED_PAD src0_sel:WORD_0 src1_sel:DWORD
	v_or_b32_sdwa v3, v3, v4 dst_sel:DWORD dst_unused:UNUSED_PAD src0_sel:WORD_0 src1_sel:DWORD
	s_cbranch_scc1 .LBB45_5
; %bb.1:
	v_cmp_ne_u32_e32 vcc, 0, v0
	v_add_u32_e32 v1, -1, v0
	v_mov_b32_e32 v4, 1
	s_branch .LBB45_3
.LBB45_2:                               ;   in Loop: Header=BB45_3 Depth=1
	s_or_b64 exec, exec, s[0:1]
	v_lshrrev_b64 v[8:9], 24, v[2:3]
	v_lshrrev_b32_e32 v9, 8, v2
	v_lshlrev_b16_e32 v10, 1, v2
	v_lshlrev_b16_sdwa v11, v4, v2 dst_sel:DWORD dst_unused:UNUSED_PAD src0_sel:DWORD src1_sel:WORD_1
	s_waitcnt lgkmcnt(0)
	v_sub_u16_e32 v6, v10, v6
	v_lshlrev_b16_e32 v10, 1, v9
	v_sub_u16_e32 v9, v11, v9
	v_lshlrev_b16_e32 v11, 1, v8
	v_lshrrev_b32_e32 v7, 8, v3
	v_sub_u16_sdwa v10, v10, v2 dst_sel:BYTE_1 dst_unused:UNUSED_PAD src0_sel:DWORD src1_sel:DWORD
	v_sub_u16_sdwa v2, v11, v2 dst_sel:BYTE_1 dst_unused:UNUSED_PAD src0_sel:DWORD src1_sel:WORD_1
	v_lshlrev_b16_e32 v11, 1, v3
	v_sub_u16_e32 v8, v11, v8
	v_lshlrev_b16_e32 v11, 1, v7
	v_lshlrev_b16_sdwa v12, v4, v3 dst_sel:DWORD dst_unused:UNUSED_PAD src0_sel:DWORD src1_sel:WORD_1
	v_lshlrev_b16_e32 v5, 1, v5
	v_sub_u16_sdwa v11, v11, v3 dst_sel:BYTE_1 dst_unused:UNUSED_PAD src0_sel:DWORD src1_sel:DWORD
	v_sub_u16_e32 v7, v12, v7
	v_sub_u16_sdwa v3, v5, v3 dst_sel:BYTE_1 dst_unused:UNUSED_PAD src0_sel:DWORD src1_sel:WORD_1
	v_or_b32_sdwa v2, v9, v2 dst_sel:WORD_1 dst_unused:UNUSED_PAD src0_sel:BYTE_0 src1_sel:DWORD
	v_or_b32_sdwa v5, v6, v10 dst_sel:DWORD dst_unused:UNUSED_PAD src0_sel:BYTE_0 src1_sel:DWORD
	v_or_b32_sdwa v2, v5, v2 dst_sel:DWORD dst_unused:UNUSED_PAD src0_sel:WORD_0 src1_sel:DWORD
	v_or_b32_sdwa v3, v7, v3 dst_sel:WORD_1 dst_unused:UNUSED_PAD src0_sel:BYTE_0 src1_sel:DWORD
	v_or_b32_sdwa v5, v8, v11 dst_sel:DWORD dst_unused:UNUSED_PAD src0_sel:BYTE_0 src1_sel:DWORD
	s_add_i32 s7, s7, -1
	s_cmp_lg_u32 s7, 0
	v_or_b32_sdwa v3, v5, v3 dst_sel:DWORD dst_unused:UNUSED_PAD src0_sel:WORD_0 src1_sel:DWORD
	s_barrier
	s_cbranch_scc0 .LBB45_5
.LBB45_3:                               ; =>This Inner Loop Header: Depth=1
	v_lshrrev_b32_e32 v5, 24, v3
	v_mov_b32_e32 v6, 0x7b
	ds_write_b8 v0, v5
	s_waitcnt lgkmcnt(0)
	s_barrier
	s_and_saveexec_b64 s[0:1], vcc
	s_cbranch_execz .LBB45_2
; %bb.4:                                ;   in Loop: Header=BB45_3 Depth=1
	ds_read_u8 v6, v1
	s_branch .LBB45_2
.LBB45_5:
	s_add_u32 s0, s2, s4
	s_addc_u32 s1, s3, 0
	v_mov_b32_e32 v1, s1
	v_add_co_u32_e32 v0, vcc, s0, v0
	v_addc_co_u32_e32 v1, vcc, 0, v1, vcc
	v_lshrrev_b32_e32 v4, 8, v2
	global_store_byte v[0:1], v2, off
	global_store_byte v[0:1], v4, off offset:256
	global_store_byte_d16_hi v[0:1], v2, off offset:512
	v_lshrrev_b32_e32 v2, 24, v2
	global_store_byte v[0:1], v2, off offset:768
	global_store_byte v[0:1], v3, off offset:1024
	v_lshrrev_b32_e32 v2, 8, v3
	global_store_byte v[0:1], v2, off offset:1280
	global_store_byte_d16_hi v[0:1], v3, off offset:1536
	v_lshrrev_b32_e32 v2, 24, v3
	global_store_byte v[0:1], v2, off offset:1792
	s_endpgm
	.section	.rodata,"a",@progbits
	.p2align	6, 0x0
	.amdhsa_kernel _Z6kernelI13subtract_leftLj256ELj8ELb1EJPaS1_jEEvDpT3_
		.amdhsa_group_segment_fixed_size 512
		.amdhsa_private_segment_fixed_size 0
		.amdhsa_kernarg_size 20
		.amdhsa_user_sgpr_count 6
		.amdhsa_user_sgpr_private_segment_buffer 1
		.amdhsa_user_sgpr_dispatch_ptr 0
		.amdhsa_user_sgpr_queue_ptr 0
		.amdhsa_user_sgpr_kernarg_segment_ptr 1
		.amdhsa_user_sgpr_dispatch_id 0
		.amdhsa_user_sgpr_flat_scratch_init 0
		.amdhsa_user_sgpr_kernarg_preload_length 0
		.amdhsa_user_sgpr_kernarg_preload_offset 0
		.amdhsa_user_sgpr_private_segment_size 0
		.amdhsa_uses_dynamic_stack 0
		.amdhsa_system_sgpr_private_segment_wavefront_offset 0
		.amdhsa_system_sgpr_workgroup_id_x 1
		.amdhsa_system_sgpr_workgroup_id_y 0
		.amdhsa_system_sgpr_workgroup_id_z 0
		.amdhsa_system_sgpr_workgroup_info 0
		.amdhsa_system_vgpr_workitem_id 0
		.amdhsa_next_free_vgpr 13
		.amdhsa_next_free_sgpr 8
		.amdhsa_accum_offset 16
		.amdhsa_reserve_vcc 1
		.amdhsa_reserve_flat_scratch 0
		.amdhsa_float_round_mode_32 0
		.amdhsa_float_round_mode_16_64 0
		.amdhsa_float_denorm_mode_32 3
		.amdhsa_float_denorm_mode_16_64 3
		.amdhsa_dx10_clamp 1
		.amdhsa_ieee_mode 1
		.amdhsa_fp16_overflow 0
		.amdhsa_tg_split 0
		.amdhsa_exception_fp_ieee_invalid_op 0
		.amdhsa_exception_fp_denorm_src 0
		.amdhsa_exception_fp_ieee_div_zero 0
		.amdhsa_exception_fp_ieee_overflow 0
		.amdhsa_exception_fp_ieee_underflow 0
		.amdhsa_exception_fp_ieee_inexact 0
		.amdhsa_exception_int_div_zero 0
	.end_amdhsa_kernel
	.section	.text._Z6kernelI13subtract_leftLj256ELj8ELb1EJPaS1_jEEvDpT3_,"axG",@progbits,_Z6kernelI13subtract_leftLj256ELj8ELb1EJPaS1_jEEvDpT3_,comdat
.Lfunc_end45:
	.size	_Z6kernelI13subtract_leftLj256ELj8ELb1EJPaS1_jEEvDpT3_, .Lfunc_end45-_Z6kernelI13subtract_leftLj256ELj8ELb1EJPaS1_jEEvDpT3_
                                        ; -- End function
	.section	.AMDGPU.csdata,"",@progbits
; Kernel info:
; codeLenInByte = 536
; NumSgprs: 12
; NumVgprs: 13
; NumAgprs: 0
; TotalNumVgprs: 13
; ScratchSize: 0
; MemoryBound: 0
; FloatMode: 240
; IeeeMode: 1
; LDSByteSize: 512 bytes/workgroup (compile time only)
; SGPRBlocks: 1
; VGPRBlocks: 1
; NumSGPRsForWavesPerEU: 12
; NumVGPRsForWavesPerEU: 13
; AccumOffset: 16
; Occupancy: 8
; WaveLimiterHint : 1
; COMPUTE_PGM_RSRC2:SCRATCH_EN: 0
; COMPUTE_PGM_RSRC2:USER_SGPR: 6
; COMPUTE_PGM_RSRC2:TRAP_HANDLER: 0
; COMPUTE_PGM_RSRC2:TGID_X_EN: 1
; COMPUTE_PGM_RSRC2:TGID_Y_EN: 0
; COMPUTE_PGM_RSRC2:TGID_Z_EN: 0
; COMPUTE_PGM_RSRC2:TIDIG_COMP_CNT: 0
; COMPUTE_PGM_RSRC3_GFX90A:ACCUM_OFFSET: 3
; COMPUTE_PGM_RSRC3_GFX90A:TG_SPLIT: 0
	.section	.text._Z6kernelI13subtract_leftLj256ELj16ELb1EJPaS1_jEEvDpT3_,"axG",@progbits,_Z6kernelI13subtract_leftLj256ELj16ELb1EJPaS1_jEEvDpT3_,comdat
	.protected	_Z6kernelI13subtract_leftLj256ELj16ELb1EJPaS1_jEEvDpT3_ ; -- Begin function _Z6kernelI13subtract_leftLj256ELj16ELb1EJPaS1_jEEvDpT3_
	.globl	_Z6kernelI13subtract_leftLj256ELj16ELb1EJPaS1_jEEvDpT3_
	.p2align	8
	.type	_Z6kernelI13subtract_leftLj256ELj16ELb1EJPaS1_jEEvDpT3_,@function
_Z6kernelI13subtract_leftLj256ELj16ELb1EJPaS1_jEEvDpT3_: ; @_Z6kernelI13subtract_leftLj256ELj16ELb1EJPaS1_jEEvDpT3_
; %bb.0:
	s_load_dwordx4 s[0:3], s[4:5], 0x0
	s_load_dword s7, s[4:5], 0x10
	s_lshl_b32 s4, s6, 12
	s_waitcnt lgkmcnt(0)
	s_add_u32 s0, s0, s4
	s_addc_u32 s1, s1, 0
	global_load_ubyte v1, v0, s[0:1] offset:256
	global_load_ubyte v2, v0, s[0:1] offset:768
	;; [unrolled: 1-line block ×8, first 2 shown]
	global_load_ubyte v9, v0, s[0:1]
	global_load_ubyte v10, v0, s[0:1] offset:512
	global_load_ubyte v11, v0, s[0:1] offset:1024
	;; [unrolled: 1-line block ×7, first 2 shown]
	s_cmp_eq_u32 s7, 0
	s_waitcnt vmcnt(15)
	v_lshlrev_b16_e32 v1, 8, v1
	s_waitcnt vmcnt(14)
	v_lshlrev_b16_e32 v2, 8, v2
	;; [unrolled: 2-line block ×8, first 2 shown]
	s_waitcnt vmcnt(7)
	v_or_b32_e32 v1, v9, v1
	s_waitcnt vmcnt(6)
	v_or_b32_sdwa v2, v10, v2 dst_sel:WORD_1 dst_unused:UNUSED_PAD src0_sel:DWORD src1_sel:DWORD
	s_waitcnt vmcnt(5)
	v_or_b32_e32 v3, v11, v3
	s_waitcnt vmcnt(4)
	v_or_b32_sdwa v9, v12, v4 dst_sel:WORD_1 dst_unused:UNUSED_PAD src0_sel:DWORD src1_sel:DWORD
	;; [unrolled: 4-line block ×4, first 2 shown]
	v_or_b32_sdwa v4, v1, v2 dst_sel:DWORD dst_unused:UNUSED_PAD src0_sel:WORD_0 src1_sel:DWORD
	v_or_b32_sdwa v5, v3, v9 dst_sel:DWORD dst_unused:UNUSED_PAD src0_sel:WORD_0 src1_sel:DWORD
	v_or_b32_sdwa v2, v10, v6 dst_sel:DWORD dst_unused:UNUSED_PAD src0_sel:WORD_0 src1_sel:DWORD
	v_or_b32_sdwa v3, v7, v8 dst_sel:DWORD dst_unused:UNUSED_PAD src0_sel:WORD_0 src1_sel:DWORD
	s_cbranch_scc1 .LBB46_5
; %bb.1:
	v_cmp_ne_u32_e32 vcc, 0, v0
	v_add_u32_e32 v1, -1, v0
	v_mov_b32_e32 v6, 1
	s_branch .LBB46_3
.LBB46_2:                               ;   in Loop: Header=BB46_3 Depth=1
	s_or_b64 exec, exec, s[0:1]
	v_lshrrev_b64 v[12:13], 24, v[4:5]
	v_lshrrev_b32_e32 v13, 8, v4
	v_lshlrev_b16_e32 v15, 1, v4
	v_lshlrev_b16_sdwa v16, v6, v4 dst_sel:DWORD dst_unused:UNUSED_PAD src0_sel:DWORD src1_sel:WORD_1
	s_waitcnt lgkmcnt(0)
	v_sub_u16_e32 v8, v15, v8
	v_lshlrev_b16_e32 v15, 1, v13
	v_sub_u16_e32 v13, v16, v13
	v_lshlrev_b16_e32 v16, 1, v12
	v_lshrrev_b64 v[10:11], 24, v[2:3]
	v_lshrrev_b32_e32 v14, 8, v5
	v_sub_u16_sdwa v15, v15, v4 dst_sel:BYTE_1 dst_unused:UNUSED_PAD src0_sel:DWORD src1_sel:DWORD
	v_sub_u16_sdwa v4, v16, v4 dst_sel:BYTE_1 dst_unused:UNUSED_PAD src0_sel:DWORD src1_sel:WORD_1
	v_lshlrev_b16_e32 v16, 1, v5
	v_lshlrev_b16_sdwa v17, v6, v5 dst_sel:DWORD dst_unused:UNUSED_PAD src0_sel:DWORD src1_sel:WORD_1
	v_lshrrev_b32_e32 v11, 8, v2
	v_sub_u16_e32 v12, v16, v12
	v_lshlrev_b16_e32 v16, 1, v14
	v_sub_u16_e32 v14, v17, v14
	v_lshlrev_b16_sdwa v17, v6, v5 dst_sel:DWORD dst_unused:UNUSED_PAD src0_sel:DWORD src1_sel:BYTE_3
	v_lshlrev_b16_e32 v18, 1, v2
	v_sub_u16_sdwa v16, v16, v5 dst_sel:BYTE_1 dst_unused:UNUSED_PAD src0_sel:DWORD src1_sel:DWORD
	v_sub_u16_sdwa v17, v17, v5 dst_sel:BYTE_1 dst_unused:UNUSED_PAD src0_sel:DWORD src1_sel:WORD_1
	v_sub_u16_sdwa v18, v18, v5 dst_sel:DWORD dst_unused:UNUSED_PAD src0_sel:DWORD src1_sel:BYTE_3
	v_lshlrev_b16_e32 v5, 1, v11
	v_sub_u16_sdwa v19, v5, v2 dst_sel:BYTE_1 dst_unused:UNUSED_PAD src0_sel:DWORD src1_sel:DWORD
	v_lshlrev_b16_sdwa v5, v6, v2 dst_sel:DWORD dst_unused:UNUSED_PAD src0_sel:DWORD src1_sel:WORD_1
	v_sub_u16_e32 v11, v5, v11
	v_lshlrev_b16_e32 v5, 1, v10
	v_lshrrev_b32_e32 v9, 8, v3
	v_sub_u16_sdwa v2, v5, v2 dst_sel:BYTE_1 dst_unused:UNUSED_PAD src0_sel:DWORD src1_sel:WORD_1
	v_lshlrev_b16_e32 v5, 1, v3
	v_sub_u16_e32 v10, v5, v10
	v_lshlrev_b16_e32 v5, 1, v9
	v_sub_u16_sdwa v20, v5, v3 dst_sel:BYTE_1 dst_unused:UNUSED_PAD src0_sel:DWORD src1_sel:DWORD
	v_lshlrev_b16_sdwa v5, v6, v3 dst_sel:DWORD dst_unused:UNUSED_PAD src0_sel:DWORD src1_sel:WORD_1
	v_sub_u16_e32 v9, v5, v9
	v_lshlrev_b16_e32 v5, 1, v7
	v_sub_u16_sdwa v3, v5, v3 dst_sel:BYTE_1 dst_unused:UNUSED_PAD src0_sel:DWORD src1_sel:WORD_1
	v_or_b32_sdwa v4, v13, v4 dst_sel:WORD_1 dst_unused:UNUSED_PAD src0_sel:BYTE_0 src1_sel:DWORD
	v_or_b32_sdwa v5, v8, v15 dst_sel:DWORD dst_unused:UNUSED_PAD src0_sel:BYTE_0 src1_sel:DWORD
	v_or_b32_sdwa v4, v5, v4 dst_sel:DWORD dst_unused:UNUSED_PAD src0_sel:WORD_0 src1_sel:DWORD
	v_or_b32_sdwa v5, v14, v17 dst_sel:WORD_1 dst_unused:UNUSED_PAD src0_sel:BYTE_0 src1_sel:DWORD
	v_or_b32_sdwa v7, v12, v16 dst_sel:DWORD dst_unused:UNUSED_PAD src0_sel:BYTE_0 src1_sel:DWORD
	v_or_b32_sdwa v5, v7, v5 dst_sel:DWORD dst_unused:UNUSED_PAD src0_sel:WORD_0 src1_sel:DWORD
	;; [unrolled: 3-line block ×3, first 2 shown]
	v_or_b32_sdwa v3, v9, v3 dst_sel:WORD_1 dst_unused:UNUSED_PAD src0_sel:BYTE_0 src1_sel:DWORD
	v_or_b32_sdwa v7, v10, v20 dst_sel:DWORD dst_unused:UNUSED_PAD src0_sel:BYTE_0 src1_sel:DWORD
	s_add_i32 s7, s7, -1
	s_cmp_lg_u32 s7, 0
	v_or_b32_sdwa v3, v7, v3 dst_sel:DWORD dst_unused:UNUSED_PAD src0_sel:WORD_0 src1_sel:DWORD
	s_barrier
	s_cbranch_scc0 .LBB46_5
.LBB46_3:                               ; =>This Inner Loop Header: Depth=1
	v_lshrrev_b32_e32 v7, 24, v3
	v_mov_b32_e32 v8, 0x7b
	ds_write_b8 v0, v7
	s_waitcnt lgkmcnt(0)
	s_barrier
	s_and_saveexec_b64 s[0:1], vcc
	s_cbranch_execz .LBB46_2
; %bb.4:                                ;   in Loop: Header=BB46_3 Depth=1
	ds_read_u8 v8, v1
	s_branch .LBB46_2
.LBB46_5:
	s_add_u32 s0, s2, s4
	s_addc_u32 s1, s3, 0
	v_mov_b32_e32 v1, s1
	v_add_co_u32_e32 v0, vcc, s0, v0
	v_addc_co_u32_e32 v1, vcc, 0, v1, vcc
	v_lshrrev_b32_e32 v6, 8, v4
	global_store_byte v[0:1], v4, off
	global_store_byte v[0:1], v6, off offset:256
	global_store_byte_d16_hi v[0:1], v4, off offset:512
	v_lshrrev_b32_e32 v4, 24, v4
	global_store_byte v[0:1], v4, off offset:768
	global_store_byte v[0:1], v5, off offset:1024
	v_lshrrev_b32_e32 v4, 8, v5
	global_store_byte v[0:1], v4, off offset:1280
	global_store_byte_d16_hi v[0:1], v5, off offset:1536
	v_lshrrev_b32_e32 v4, 24, v5
	global_store_byte v[0:1], v4, off offset:1792
	global_store_byte v[0:1], v2, off offset:2048
	v_lshrrev_b32_e32 v4, 8, v2
	;; [unrolled: 6-line block ×3, first 2 shown]
	global_store_byte v[0:1], v2, off offset:3328
	global_store_byte_d16_hi v[0:1], v3, off offset:3584
	v_lshrrev_b32_e32 v2, 24, v3
	global_store_byte v[0:1], v2, off offset:3840
	s_endpgm
	.section	.rodata,"a",@progbits
	.p2align	6, 0x0
	.amdhsa_kernel _Z6kernelI13subtract_leftLj256ELj16ELb1EJPaS1_jEEvDpT3_
		.amdhsa_group_segment_fixed_size 512
		.amdhsa_private_segment_fixed_size 0
		.amdhsa_kernarg_size 20
		.amdhsa_user_sgpr_count 6
		.amdhsa_user_sgpr_private_segment_buffer 1
		.amdhsa_user_sgpr_dispatch_ptr 0
		.amdhsa_user_sgpr_queue_ptr 0
		.amdhsa_user_sgpr_kernarg_segment_ptr 1
		.amdhsa_user_sgpr_dispatch_id 0
		.amdhsa_user_sgpr_flat_scratch_init 0
		.amdhsa_user_sgpr_kernarg_preload_length 0
		.amdhsa_user_sgpr_kernarg_preload_offset 0
		.amdhsa_user_sgpr_private_segment_size 0
		.amdhsa_uses_dynamic_stack 0
		.amdhsa_system_sgpr_private_segment_wavefront_offset 0
		.amdhsa_system_sgpr_workgroup_id_x 1
		.amdhsa_system_sgpr_workgroup_id_y 0
		.amdhsa_system_sgpr_workgroup_id_z 0
		.amdhsa_system_sgpr_workgroup_info 0
		.amdhsa_system_vgpr_workitem_id 0
		.amdhsa_next_free_vgpr 21
		.amdhsa_next_free_sgpr 8
		.amdhsa_accum_offset 24
		.amdhsa_reserve_vcc 1
		.amdhsa_reserve_flat_scratch 0
		.amdhsa_float_round_mode_32 0
		.amdhsa_float_round_mode_16_64 0
		.amdhsa_float_denorm_mode_32 3
		.amdhsa_float_denorm_mode_16_64 3
		.amdhsa_dx10_clamp 1
		.amdhsa_ieee_mode 1
		.amdhsa_fp16_overflow 0
		.amdhsa_tg_split 0
		.amdhsa_exception_fp_ieee_invalid_op 0
		.amdhsa_exception_fp_denorm_src 0
		.amdhsa_exception_fp_ieee_div_zero 0
		.amdhsa_exception_fp_ieee_overflow 0
		.amdhsa_exception_fp_ieee_underflow 0
		.amdhsa_exception_fp_ieee_inexact 0
		.amdhsa_exception_int_div_zero 0
	.end_amdhsa_kernel
	.section	.text._Z6kernelI13subtract_leftLj256ELj16ELb1EJPaS1_jEEvDpT3_,"axG",@progbits,_Z6kernelI13subtract_leftLj256ELj16ELb1EJPaS1_jEEvDpT3_,comdat
.Lfunc_end46:
	.size	_Z6kernelI13subtract_leftLj256ELj16ELb1EJPaS1_jEEvDpT3_, .Lfunc_end46-_Z6kernelI13subtract_leftLj256ELj16ELb1EJPaS1_jEEvDpT3_
                                        ; -- End function
	.section	.AMDGPU.csdata,"",@progbits
; Kernel info:
; codeLenInByte = 928
; NumSgprs: 12
; NumVgprs: 21
; NumAgprs: 0
; TotalNumVgprs: 21
; ScratchSize: 0
; MemoryBound: 0
; FloatMode: 240
; IeeeMode: 1
; LDSByteSize: 512 bytes/workgroup (compile time only)
; SGPRBlocks: 1
; VGPRBlocks: 2
; NumSGPRsForWavesPerEU: 12
; NumVGPRsForWavesPerEU: 21
; AccumOffset: 24
; Occupancy: 8
; WaveLimiterHint : 1
; COMPUTE_PGM_RSRC2:SCRATCH_EN: 0
; COMPUTE_PGM_RSRC2:USER_SGPR: 6
; COMPUTE_PGM_RSRC2:TRAP_HANDLER: 0
; COMPUTE_PGM_RSRC2:TGID_X_EN: 1
; COMPUTE_PGM_RSRC2:TGID_Y_EN: 0
; COMPUTE_PGM_RSRC2:TGID_Z_EN: 0
; COMPUTE_PGM_RSRC2:TIDIG_COMP_CNT: 0
; COMPUTE_PGM_RSRC3_GFX90A:ACCUM_OFFSET: 5
; COMPUTE_PGM_RSRC3_GFX90A:TG_SPLIT: 0
	.section	.text._Z6kernelI13subtract_leftLj256ELj32ELb1EJPaS1_jEEvDpT3_,"axG",@progbits,_Z6kernelI13subtract_leftLj256ELj32ELb1EJPaS1_jEEvDpT3_,comdat
	.protected	_Z6kernelI13subtract_leftLj256ELj32ELb1EJPaS1_jEEvDpT3_ ; -- Begin function _Z6kernelI13subtract_leftLj256ELj32ELb1EJPaS1_jEEvDpT3_
	.globl	_Z6kernelI13subtract_leftLj256ELj32ELb1EJPaS1_jEEvDpT3_
	.p2align	8
	.type	_Z6kernelI13subtract_leftLj256ELj32ELb1EJPaS1_jEEvDpT3_,@function
_Z6kernelI13subtract_leftLj256ELj32ELb1EJPaS1_jEEvDpT3_: ; @_Z6kernelI13subtract_leftLj256ELj32ELb1EJPaS1_jEEvDpT3_
; %bb.0:
	s_load_dwordx4 s[0:3], s[4:5], 0x0
	s_load_dword s7, s[4:5], 0x10
	s_lshl_b32 s4, s6, 13
	s_waitcnt lgkmcnt(0)
	s_add_u32 s0, s0, s4
	s_addc_u32 s1, s1, 0
	v_mov_b32_e32 v1, s1
	v_add_co_u32_e32 v2, vcc, s0, v0
	v_addc_co_u32_e32 v1, vcc, 0, v1, vcc
	global_load_ubyte v32, v0, s[0:1]
	global_load_ubyte v31, v0, s[0:1] offset:256
	global_load_ubyte v30, v0, s[0:1] offset:512
	;; [unrolled: 1-line block ×15, first 2 shown]
	s_movk_i32 s0, 0x1000
	v_add_co_u32_e32 v34, vcc, s0, v2
	v_addc_co_u32_e32 v35, vcc, 0, v1, vcc
	global_load_ubyte v16, v[34:35], off
	global_load_ubyte v15, v[34:35], off offset:256
	global_load_ubyte v14, v[34:35], off offset:512
	global_load_ubyte v13, v[34:35], off offset:768
	global_load_ubyte v12, v[34:35], off offset:1024
	global_load_ubyte v11, v[34:35], off offset:1280
	global_load_ubyte v10, v[34:35], off offset:1536
	global_load_ubyte v9, v[34:35], off offset:1792
	global_load_ubyte v8, v[34:35], off offset:2048
	global_load_ubyte v7, v[34:35], off offset:2304
	global_load_ubyte v6, v[34:35], off offset:2560
	global_load_ubyte v5, v[34:35], off offset:2816
	global_load_ubyte v4, v[34:35], off offset:3072
	global_load_ubyte v3, v[34:35], off offset:3328
	global_load_ubyte v2, v[34:35], off offset:3584
	global_load_ubyte v1, v[34:35], off offset:3840
	s_cmp_eq_u32 s7, 0
	s_cbranch_scc1 .LBB47_5
; %bb.1:
	v_cmp_ne_u32_e32 vcc, 0, v0
	v_add_u32_e32 v33, -1, v0
	s_branch .LBB47_3
.LBB47_2:                               ;   in Loop: Header=BB47_3 Depth=1
	s_or_b64 exec, exec, s[0:1]
	v_sub_u16_e32 v61, v31, v32
	s_waitcnt lgkmcnt(0)
	v_sub_u16_e32 v34, v32, v34
	v_add_u16_e32 v32, v34, v32
	v_sub_u16_e32 v34, v30, v31
	v_add_u16_e32 v31, v61, v31
	v_sub_u16_e32 v61, v29, v30
	v_sub_u16_e32 v35, v1, v2
	;; [unrolled: 1-line block ×27, first 2 shown]
	v_add_u16_e32 v30, v34, v30
	v_sub_u16_e32 v34, v28, v29
	v_add_u16_e32 v29, v61, v29
	v_sub_u16_e32 v61, v27, v28
	s_add_i32 s7, s7, -1
	v_add_u16_e32 v28, v34, v28
	v_add_u16_e32 v27, v61, v27
	;; [unrolled: 1-line block ×28, first 2 shown]
	s_cmp_lg_u32 s7, 0
	s_barrier
	s_cbranch_scc0 .LBB47_5
.LBB47_3:                               ; =>This Inner Loop Header: Depth=1
	v_mov_b32_e32 v34, 0x7b
	s_waitcnt vmcnt(0)
	ds_write_b8 v0, v1
	s_waitcnt lgkmcnt(0)
	s_barrier
	s_and_saveexec_b64 s[0:1], vcc
	s_cbranch_execz .LBB47_2
; %bb.4:                                ;   in Loop: Header=BB47_3 Depth=1
	ds_read_u8 v34, v33
	s_branch .LBB47_2
.LBB47_5:
	s_add_u32 s0, s2, s4
	s_addc_u32 s1, s3, 0
	v_mov_b32_e32 v33, s1
	v_add_co_u32_e32 v34, vcc, s0, v0
	v_addc_co_u32_e32 v35, vcc, 0, v33, vcc
	s_movk_i32 s0, 0x1000
	s_waitcnt vmcnt(31)
	global_store_byte v[34:35], v32, off
	s_waitcnt vmcnt(31)
	global_store_byte v[34:35], v31, off offset:256
	s_waitcnt vmcnt(31)
	global_store_byte v[34:35], v30, off offset:512
	;; [unrolled: 2-line block ×15, first 2 shown]
	v_add_co_u32_e32 v18, vcc, s0, v34
	v_addc_co_u32_e32 v19, vcc, 0, v35, vcc
	s_waitcnt vmcnt(31)
	global_store_byte v[18:19], v16, off
	s_waitcnt vmcnt(31)
	global_store_byte v[18:19], v15, off offset:256
	s_waitcnt vmcnt(31)
	global_store_byte v[18:19], v14, off offset:512
	s_waitcnt vmcnt(31)
	global_store_byte v[18:19], v13, off offset:768
	s_waitcnt vmcnt(31)
	global_store_byte v[18:19], v12, off offset:1024
	s_waitcnt vmcnt(31)
	global_store_byte v[18:19], v11, off offset:1280
	s_waitcnt vmcnt(31)
	global_store_byte v[18:19], v10, off offset:1536
	s_waitcnt vmcnt(31)
	global_store_byte v[18:19], v9, off offset:1792
	s_waitcnt vmcnt(31)
	global_store_byte v[18:19], v8, off offset:2048
	s_waitcnt vmcnt(31)
	global_store_byte v[18:19], v7, off offset:2304
	s_waitcnt vmcnt(31)
	global_store_byte v[18:19], v6, off offset:2560
	s_waitcnt vmcnt(31)
	global_store_byte v[18:19], v5, off offset:2816
	s_waitcnt vmcnt(31)
	global_store_byte v[18:19], v4, off offset:3072
	s_waitcnt vmcnt(31)
	global_store_byte v[18:19], v3, off offset:3328
	s_waitcnt vmcnt(31)
	global_store_byte v[18:19], v2, off offset:3584
	s_waitcnt vmcnt(31)
	global_store_byte v[18:19], v1, off offset:3840
	s_endpgm
	.section	.rodata,"a",@progbits
	.p2align	6, 0x0
	.amdhsa_kernel _Z6kernelI13subtract_leftLj256ELj32ELb1EJPaS1_jEEvDpT3_
		.amdhsa_group_segment_fixed_size 512
		.amdhsa_private_segment_fixed_size 0
		.amdhsa_kernarg_size 20
		.amdhsa_user_sgpr_count 6
		.amdhsa_user_sgpr_private_segment_buffer 1
		.amdhsa_user_sgpr_dispatch_ptr 0
		.amdhsa_user_sgpr_queue_ptr 0
		.amdhsa_user_sgpr_kernarg_segment_ptr 1
		.amdhsa_user_sgpr_dispatch_id 0
		.amdhsa_user_sgpr_flat_scratch_init 0
		.amdhsa_user_sgpr_kernarg_preload_length 0
		.amdhsa_user_sgpr_kernarg_preload_offset 0
		.amdhsa_user_sgpr_private_segment_size 0
		.amdhsa_uses_dynamic_stack 0
		.amdhsa_system_sgpr_private_segment_wavefront_offset 0
		.amdhsa_system_sgpr_workgroup_id_x 1
		.amdhsa_system_sgpr_workgroup_id_y 0
		.amdhsa_system_sgpr_workgroup_id_z 0
		.amdhsa_system_sgpr_workgroup_info 0
		.amdhsa_system_vgpr_workitem_id 0
		.amdhsa_next_free_vgpr 62
		.amdhsa_next_free_sgpr 8
		.amdhsa_accum_offset 64
		.amdhsa_reserve_vcc 1
		.amdhsa_reserve_flat_scratch 0
		.amdhsa_float_round_mode_32 0
		.amdhsa_float_round_mode_16_64 0
		.amdhsa_float_denorm_mode_32 3
		.amdhsa_float_denorm_mode_16_64 3
		.amdhsa_dx10_clamp 1
		.amdhsa_ieee_mode 1
		.amdhsa_fp16_overflow 0
		.amdhsa_tg_split 0
		.amdhsa_exception_fp_ieee_invalid_op 0
		.amdhsa_exception_fp_denorm_src 0
		.amdhsa_exception_fp_ieee_div_zero 0
		.amdhsa_exception_fp_ieee_overflow 0
		.amdhsa_exception_fp_ieee_underflow 0
		.amdhsa_exception_fp_ieee_inexact 0
		.amdhsa_exception_int_div_zero 0
	.end_amdhsa_kernel
	.section	.text._Z6kernelI13subtract_leftLj256ELj32ELb1EJPaS1_jEEvDpT3_,"axG",@progbits,_Z6kernelI13subtract_leftLj256ELj32ELb1EJPaS1_jEEvDpT3_,comdat
.Lfunc_end47:
	.size	_Z6kernelI13subtract_leftLj256ELj32ELb1EJPaS1_jEEvDpT3_, .Lfunc_end47-_Z6kernelI13subtract_leftLj256ELj32ELb1EJPaS1_jEEvDpT3_
                                        ; -- End function
	.section	.AMDGPU.csdata,"",@progbits
; Kernel info:
; codeLenInByte = 1080
; NumSgprs: 12
; NumVgprs: 62
; NumAgprs: 0
; TotalNumVgprs: 62
; ScratchSize: 0
; MemoryBound: 0
; FloatMode: 240
; IeeeMode: 1
; LDSByteSize: 512 bytes/workgroup (compile time only)
; SGPRBlocks: 1
; VGPRBlocks: 7
; NumSGPRsForWavesPerEU: 12
; NumVGPRsForWavesPerEU: 62
; AccumOffset: 64
; Occupancy: 8
; WaveLimiterHint : 1
; COMPUTE_PGM_RSRC2:SCRATCH_EN: 0
; COMPUTE_PGM_RSRC2:USER_SGPR: 6
; COMPUTE_PGM_RSRC2:TRAP_HANDLER: 0
; COMPUTE_PGM_RSRC2:TGID_X_EN: 1
; COMPUTE_PGM_RSRC2:TGID_Y_EN: 0
; COMPUTE_PGM_RSRC2:TGID_Z_EN: 0
; COMPUTE_PGM_RSRC2:TIDIG_COMP_CNT: 0
; COMPUTE_PGM_RSRC3_GFX90A:ACCUM_OFFSET: 15
; COMPUTE_PGM_RSRC3_GFX90A:TG_SPLIT: 0
	.section	.text._Z6kernelI13subtract_leftLj256ELj1ELb1EJPxS1_jEEvDpT3_,"axG",@progbits,_Z6kernelI13subtract_leftLj256ELj1ELb1EJPxS1_jEEvDpT3_,comdat
	.protected	_Z6kernelI13subtract_leftLj256ELj1ELb1EJPxS1_jEEvDpT3_ ; -- Begin function _Z6kernelI13subtract_leftLj256ELj1ELb1EJPxS1_jEEvDpT3_
	.globl	_Z6kernelI13subtract_leftLj256ELj1ELb1EJPxS1_jEEvDpT3_
	.p2align	8
	.type	_Z6kernelI13subtract_leftLj256ELj1ELb1EJPxS1_jEEvDpT3_,@function
_Z6kernelI13subtract_leftLj256ELj1ELb1EJPxS1_jEEvDpT3_: ; @_Z6kernelI13subtract_leftLj256ELj1ELb1EJPxS1_jEEvDpT3_
; %bb.0:
	s_load_dwordx4 s[0:3], s[4:5], 0x0
	s_load_dword s7, s[4:5], 0x10
	s_lshl_b32 s4, s6, 8
	s_mov_b32 s5, 0
	s_lshl_b64 s[4:5], s[4:5], 3
	s_waitcnt lgkmcnt(0)
	s_add_u32 s0, s0, s4
	s_addc_u32 s1, s1, s5
	v_lshlrev_b32_e32 v4, 3, v0
	global_load_dwordx2 v[2:3], v4, s[0:1]
	s_cmp_eq_u32 s7, 0
	s_cbranch_scc1 .LBB48_5
; %bb.1:
	v_cmp_ne_u32_e32 vcc, 0, v0
	v_add_u32_e32 v5, -8, v4
	s_branch .LBB48_3
.LBB48_2:                               ;   in Loop: Header=BB48_3 Depth=1
	s_or_b64 exec, exec, s[0:1]
	v_lshlrev_b64 v[2:3], 1, v[2:3]
	s_waitcnt lgkmcnt(0)
	v_sub_co_u32_e64 v2, s[0:1], v2, v0
	s_add_i32 s7, s7, -1
	v_subb_co_u32_e64 v3, s[0:1], v3, v1, s[0:1]
	s_cmp_lg_u32 s7, 0
	s_barrier
	s_cbranch_scc0 .LBB48_5
.LBB48_3:                               ; =>This Inner Loop Header: Depth=1
	v_mov_b32_e32 v0, 0x7b
	v_mov_b32_e32 v1, 0
	s_waitcnt vmcnt(0)
	ds_write_b64 v4, v[2:3]
	s_waitcnt lgkmcnt(0)
	s_barrier
	s_and_saveexec_b64 s[0:1], vcc
	s_cbranch_execz .LBB48_2
; %bb.4:                                ;   in Loop: Header=BB48_3 Depth=1
	ds_read_b64 v[0:1], v5
	s_branch .LBB48_2
.LBB48_5:
	s_add_u32 s0, s2, s4
	s_addc_u32 s1, s3, s5
	s_waitcnt vmcnt(0)
	global_store_dwordx2 v4, v[2:3], s[0:1]
	s_endpgm
	.section	.rodata,"a",@progbits
	.p2align	6, 0x0
	.amdhsa_kernel _Z6kernelI13subtract_leftLj256ELj1ELb1EJPxS1_jEEvDpT3_
		.amdhsa_group_segment_fixed_size 4096
		.amdhsa_private_segment_fixed_size 0
		.amdhsa_kernarg_size 20
		.amdhsa_user_sgpr_count 6
		.amdhsa_user_sgpr_private_segment_buffer 1
		.amdhsa_user_sgpr_dispatch_ptr 0
		.amdhsa_user_sgpr_queue_ptr 0
		.amdhsa_user_sgpr_kernarg_segment_ptr 1
		.amdhsa_user_sgpr_dispatch_id 0
		.amdhsa_user_sgpr_flat_scratch_init 0
		.amdhsa_user_sgpr_kernarg_preload_length 0
		.amdhsa_user_sgpr_kernarg_preload_offset 0
		.amdhsa_user_sgpr_private_segment_size 0
		.amdhsa_uses_dynamic_stack 0
		.amdhsa_system_sgpr_private_segment_wavefront_offset 0
		.amdhsa_system_sgpr_workgroup_id_x 1
		.amdhsa_system_sgpr_workgroup_id_y 0
		.amdhsa_system_sgpr_workgroup_id_z 0
		.amdhsa_system_sgpr_workgroup_info 0
		.amdhsa_system_vgpr_workitem_id 0
		.amdhsa_next_free_vgpr 6
		.amdhsa_next_free_sgpr 8
		.amdhsa_accum_offset 8
		.amdhsa_reserve_vcc 1
		.amdhsa_reserve_flat_scratch 0
		.amdhsa_float_round_mode_32 0
		.amdhsa_float_round_mode_16_64 0
		.amdhsa_float_denorm_mode_32 3
		.amdhsa_float_denorm_mode_16_64 3
		.amdhsa_dx10_clamp 1
		.amdhsa_ieee_mode 1
		.amdhsa_fp16_overflow 0
		.amdhsa_tg_split 0
		.amdhsa_exception_fp_ieee_invalid_op 0
		.amdhsa_exception_fp_denorm_src 0
		.amdhsa_exception_fp_ieee_div_zero 0
		.amdhsa_exception_fp_ieee_overflow 0
		.amdhsa_exception_fp_ieee_underflow 0
		.amdhsa_exception_fp_ieee_inexact 0
		.amdhsa_exception_int_div_zero 0
	.end_amdhsa_kernel
	.section	.text._Z6kernelI13subtract_leftLj256ELj1ELb1EJPxS1_jEEvDpT3_,"axG",@progbits,_Z6kernelI13subtract_leftLj256ELj1ELb1EJPxS1_jEEvDpT3_,comdat
.Lfunc_end48:
	.size	_Z6kernelI13subtract_leftLj256ELj1ELb1EJPxS1_jEEvDpT3_, .Lfunc_end48-_Z6kernelI13subtract_leftLj256ELj1ELb1EJPxS1_jEEvDpT3_
                                        ; -- End function
	.section	.AMDGPU.csdata,"",@progbits
; Kernel info:
; codeLenInByte = 196
; NumSgprs: 12
; NumVgprs: 6
; NumAgprs: 0
; TotalNumVgprs: 6
; ScratchSize: 0
; MemoryBound: 0
; FloatMode: 240
; IeeeMode: 1
; LDSByteSize: 4096 bytes/workgroup (compile time only)
; SGPRBlocks: 1
; VGPRBlocks: 0
; NumSGPRsForWavesPerEU: 12
; NumVGPRsForWavesPerEU: 6
; AccumOffset: 8
; Occupancy: 8
; WaveLimiterHint : 0
; COMPUTE_PGM_RSRC2:SCRATCH_EN: 0
; COMPUTE_PGM_RSRC2:USER_SGPR: 6
; COMPUTE_PGM_RSRC2:TRAP_HANDLER: 0
; COMPUTE_PGM_RSRC2:TGID_X_EN: 1
; COMPUTE_PGM_RSRC2:TGID_Y_EN: 0
; COMPUTE_PGM_RSRC2:TGID_Z_EN: 0
; COMPUTE_PGM_RSRC2:TIDIG_COMP_CNT: 0
; COMPUTE_PGM_RSRC3_GFX90A:ACCUM_OFFSET: 1
; COMPUTE_PGM_RSRC3_GFX90A:TG_SPLIT: 0
	.section	.text._Z6kernelI13subtract_leftLj256ELj3ELb1EJPxS1_jEEvDpT3_,"axG",@progbits,_Z6kernelI13subtract_leftLj256ELj3ELb1EJPxS1_jEEvDpT3_,comdat
	.protected	_Z6kernelI13subtract_leftLj256ELj3ELb1EJPxS1_jEEvDpT3_ ; -- Begin function _Z6kernelI13subtract_leftLj256ELj3ELb1EJPxS1_jEEvDpT3_
	.globl	_Z6kernelI13subtract_leftLj256ELj3ELb1EJPxS1_jEEvDpT3_
	.p2align	8
	.type	_Z6kernelI13subtract_leftLj256ELj3ELb1EJPxS1_jEEvDpT3_,@function
_Z6kernelI13subtract_leftLj256ELj3ELb1EJPxS1_jEEvDpT3_: ; @_Z6kernelI13subtract_leftLj256ELj3ELb1EJPxS1_jEEvDpT3_
; %bb.0:
	s_load_dwordx4 s[0:3], s[4:5], 0x0
	s_load_dword s7, s[4:5], 0x10
	s_mul_i32 s4, s6, 0x300
	s_mov_b32 s5, 0
	s_lshl_b64 s[4:5], s[4:5], 3
	s_waitcnt lgkmcnt(0)
	s_add_u32 s0, s0, s4
	s_addc_u32 s1, s1, s5
	v_lshlrev_b32_e32 v10, 3, v0
	v_mov_b32_e32 v1, s1
	v_add_co_u32_e32 v2, vcc, s0, v10
	v_addc_co_u32_e32 v1, vcc, 0, v1, vcc
	v_add_co_u32_e32 v8, vcc, 0x1000, v2
	v_addc_co_u32_e32 v9, vcc, 0, v1, vcc
	global_load_dwordx2 v[6:7], v10, s[0:1]
	global_load_dwordx2 v[4:5], v10, s[0:1] offset:2048
	global_load_dwordx2 v[2:3], v[8:9], off
	s_cmp_eq_u32 s7, 0
	s_cbranch_scc1 .LBB49_6
; %bb.1:
	v_cmp_ne_u32_e32 vcc, 0, v0
	v_add_u32_e32 v11, -8, v10
.LBB49_2:                               ; =>This Inner Loop Header: Depth=1
	v_mov_b32_e32 v0, 0x7b
	v_mov_b32_e32 v1, 0
	s_waitcnt vmcnt(0)
	ds_write_b64 v10, v[2:3]
	s_waitcnt lgkmcnt(0)
	s_barrier
	s_and_saveexec_b64 s[0:1], vcc
	s_cbranch_execz .LBB49_4
; %bb.3:                                ;   in Loop: Header=BB49_2 Depth=1
	ds_read_b64 v[0:1], v11
.LBB49_4:                               ;   in Loop: Header=BB49_2 Depth=1
	s_or_b64 exec, exec, s[0:1]
	v_lshlrev_b64 v[8:9], 1, v[6:7]
	s_waitcnt lgkmcnt(0)
	v_sub_co_u32_e64 v0, s[0:1], v8, v0
	v_subb_co_u32_e64 v1, s[0:1], v9, v1, s[0:1]
	v_lshlrev_b64 v[8:9], 1, v[4:5]
	v_sub_co_u32_e64 v8, s[0:1], v8, v6
	v_subb_co_u32_e64 v9, s[0:1], v9, v7, s[0:1]
	v_lshlrev_b64 v[2:3], 1, v[2:3]
	v_sub_co_u32_e64 v2, s[0:1], v2, v4
	s_add_i32 s7, s7, -1
	v_subb_co_u32_e64 v3, s[0:1], v3, v5, s[0:1]
	s_cmp_lg_u32 s7, 0
	s_barrier
	s_cbranch_scc0 .LBB49_7
; %bb.5:                                ;   in Loop: Header=BB49_2 Depth=1
	v_pk_mov_b32 v[6:7], v[0:1], v[0:1] op_sel:[0,1]
	v_pk_mov_b32 v[4:5], v[8:9], v[8:9] op_sel:[0,1]
	s_branch .LBB49_2
.LBB49_6:
	s_waitcnt vmcnt(1)
	v_pk_mov_b32 v[8:9], v[4:5], v[4:5] op_sel:[0,1]
	v_pk_mov_b32 v[0:1], v[6:7], v[6:7] op_sel:[0,1]
.LBB49_7:
	s_add_u32 s0, s2, s4
	s_addc_u32 s1, s3, s5
	v_mov_b32_e32 v4, s1
	v_add_co_u32_e32 v5, vcc, s0, v10
	v_addc_co_u32_e32 v4, vcc, 0, v4, vcc
	global_store_dwordx2 v10, v[0:1], s[0:1]
	global_store_dwordx2 v10, v[8:9], s[0:1] offset:2048
	v_add_co_u32_e32 v0, vcc, 0x1000, v5
	v_addc_co_u32_e32 v1, vcc, 0, v4, vcc
	s_waitcnt vmcnt(2)
	global_store_dwordx2 v[0:1], v[2:3], off
	s_endpgm
	.section	.rodata,"a",@progbits
	.p2align	6, 0x0
	.amdhsa_kernel _Z6kernelI13subtract_leftLj256ELj3ELb1EJPxS1_jEEvDpT3_
		.amdhsa_group_segment_fixed_size 4096
		.amdhsa_private_segment_fixed_size 0
		.amdhsa_kernarg_size 20
		.amdhsa_user_sgpr_count 6
		.amdhsa_user_sgpr_private_segment_buffer 1
		.amdhsa_user_sgpr_dispatch_ptr 0
		.amdhsa_user_sgpr_queue_ptr 0
		.amdhsa_user_sgpr_kernarg_segment_ptr 1
		.amdhsa_user_sgpr_dispatch_id 0
		.amdhsa_user_sgpr_flat_scratch_init 0
		.amdhsa_user_sgpr_kernarg_preload_length 0
		.amdhsa_user_sgpr_kernarg_preload_offset 0
		.amdhsa_user_sgpr_private_segment_size 0
		.amdhsa_uses_dynamic_stack 0
		.amdhsa_system_sgpr_private_segment_wavefront_offset 0
		.amdhsa_system_sgpr_workgroup_id_x 1
		.amdhsa_system_sgpr_workgroup_id_y 0
		.amdhsa_system_sgpr_workgroup_id_z 0
		.amdhsa_system_sgpr_workgroup_info 0
		.amdhsa_system_vgpr_workitem_id 0
		.amdhsa_next_free_vgpr 12
		.amdhsa_next_free_sgpr 8
		.amdhsa_accum_offset 12
		.amdhsa_reserve_vcc 1
		.amdhsa_reserve_flat_scratch 0
		.amdhsa_float_round_mode_32 0
		.amdhsa_float_round_mode_16_64 0
		.amdhsa_float_denorm_mode_32 3
		.amdhsa_float_denorm_mode_16_64 3
		.amdhsa_dx10_clamp 1
		.amdhsa_ieee_mode 1
		.amdhsa_fp16_overflow 0
		.amdhsa_tg_split 0
		.amdhsa_exception_fp_ieee_invalid_op 0
		.amdhsa_exception_fp_denorm_src 0
		.amdhsa_exception_fp_ieee_div_zero 0
		.amdhsa_exception_fp_ieee_overflow 0
		.amdhsa_exception_fp_ieee_underflow 0
		.amdhsa_exception_fp_ieee_inexact 0
		.amdhsa_exception_int_div_zero 0
	.end_amdhsa_kernel
	.section	.text._Z6kernelI13subtract_leftLj256ELj3ELb1EJPxS1_jEEvDpT3_,"axG",@progbits,_Z6kernelI13subtract_leftLj256ELj3ELb1EJPxS1_jEEvDpT3_,comdat
.Lfunc_end49:
	.size	_Z6kernelI13subtract_leftLj256ELj3ELb1EJPxS1_jEEvDpT3_, .Lfunc_end49-_Z6kernelI13subtract_leftLj256ELj3ELb1EJPxS1_jEEvDpT3_
                                        ; -- End function
	.section	.AMDGPU.csdata,"",@progbits
; Kernel info:
; codeLenInByte = 360
; NumSgprs: 12
; NumVgprs: 12
; NumAgprs: 0
; TotalNumVgprs: 12
; ScratchSize: 0
; MemoryBound: 0
; FloatMode: 240
; IeeeMode: 1
; LDSByteSize: 4096 bytes/workgroup (compile time only)
; SGPRBlocks: 1
; VGPRBlocks: 1
; NumSGPRsForWavesPerEU: 12
; NumVGPRsForWavesPerEU: 12
; AccumOffset: 12
; Occupancy: 8
; WaveLimiterHint : 1
; COMPUTE_PGM_RSRC2:SCRATCH_EN: 0
; COMPUTE_PGM_RSRC2:USER_SGPR: 6
; COMPUTE_PGM_RSRC2:TRAP_HANDLER: 0
; COMPUTE_PGM_RSRC2:TGID_X_EN: 1
; COMPUTE_PGM_RSRC2:TGID_Y_EN: 0
; COMPUTE_PGM_RSRC2:TGID_Z_EN: 0
; COMPUTE_PGM_RSRC2:TIDIG_COMP_CNT: 0
; COMPUTE_PGM_RSRC3_GFX90A:ACCUM_OFFSET: 2
; COMPUTE_PGM_RSRC3_GFX90A:TG_SPLIT: 0
	.section	.text._Z6kernelI13subtract_leftLj256ELj4ELb1EJPxS1_jEEvDpT3_,"axG",@progbits,_Z6kernelI13subtract_leftLj256ELj4ELb1EJPxS1_jEEvDpT3_,comdat
	.protected	_Z6kernelI13subtract_leftLj256ELj4ELb1EJPxS1_jEEvDpT3_ ; -- Begin function _Z6kernelI13subtract_leftLj256ELj4ELb1EJPxS1_jEEvDpT3_
	.globl	_Z6kernelI13subtract_leftLj256ELj4ELb1EJPxS1_jEEvDpT3_
	.p2align	8
	.type	_Z6kernelI13subtract_leftLj256ELj4ELb1EJPxS1_jEEvDpT3_,@function
_Z6kernelI13subtract_leftLj256ELj4ELb1EJPxS1_jEEvDpT3_: ; @_Z6kernelI13subtract_leftLj256ELj4ELb1EJPxS1_jEEvDpT3_
; %bb.0:
	s_load_dwordx4 s[0:3], s[4:5], 0x0
	s_load_dword s7, s[4:5], 0x10
	s_lshl_b32 s4, s6, 10
	s_mov_b32 s5, 0
	s_lshl_b64 s[4:5], s[4:5], 3
	s_waitcnt lgkmcnt(0)
	s_add_u32 s0, s0, s4
	s_addc_u32 s1, s1, s5
	v_lshlrev_b32_e32 v14, 3, v0
	v_mov_b32_e32 v1, s1
	v_add_co_u32_e32 v2, vcc, s0, v14
	v_addc_co_u32_e32 v1, vcc, 0, v1, vcc
	v_add_co_u32_e32 v10, vcc, 0x1000, v2
	v_addc_co_u32_e32 v11, vcc, 0, v1, vcc
	global_load_dwordx2 v[8:9], v14, s[0:1]
	global_load_dwordx2 v[4:5], v14, s[0:1] offset:2048
	global_load_dwordx2 v[6:7], v[10:11], off
	global_load_dwordx2 v[2:3], v[10:11], off offset:2048
	s_cmp_eq_u32 s7, 0
	s_cbranch_scc1 .LBB50_6
; %bb.1:
	v_cmp_ne_u32_e32 vcc, 0, v0
	v_add_u32_e32 v15, -8, v14
.LBB50_2:                               ; =>This Inner Loop Header: Depth=1
	v_mov_b32_e32 v0, 0x7b
	v_mov_b32_e32 v1, 0
	s_waitcnt vmcnt(0)
	ds_write_b64 v14, v[2:3]
	s_waitcnt lgkmcnt(0)
	s_barrier
	s_and_saveexec_b64 s[0:1], vcc
	s_cbranch_execz .LBB50_4
; %bb.3:                                ;   in Loop: Header=BB50_2 Depth=1
	ds_read_b64 v[0:1], v15
.LBB50_4:                               ;   in Loop: Header=BB50_2 Depth=1
	s_or_b64 exec, exec, s[0:1]
	v_lshlrev_b64 v[10:11], 1, v[8:9]
	s_waitcnt lgkmcnt(0)
	v_sub_co_u32_e64 v10, s[0:1], v10, v0
	v_subb_co_u32_e64 v11, s[0:1], v11, v1, s[0:1]
	v_lshlrev_b64 v[0:1], 1, v[4:5]
	v_sub_co_u32_e64 v12, s[0:1], v0, v8
	v_subb_co_u32_e64 v13, s[0:1], v1, v9, s[0:1]
	v_lshlrev_b64 v[0:1], 1, v[6:7]
	;; [unrolled: 3-line block ×3, first 2 shown]
	v_sub_co_u32_e64 v2, s[0:1], v2, v6
	s_add_i32 s7, s7, -1
	v_subb_co_u32_e64 v3, s[0:1], v3, v7, s[0:1]
	s_cmp_lg_u32 s7, 0
	s_barrier
	s_cbranch_scc0 .LBB50_7
; %bb.5:                                ;   in Loop: Header=BB50_2 Depth=1
	v_pk_mov_b32 v[8:9], v[10:11], v[10:11] op_sel:[0,1]
	v_pk_mov_b32 v[4:5], v[12:13], v[12:13] op_sel:[0,1]
	;; [unrolled: 1-line block ×3, first 2 shown]
	s_branch .LBB50_2
.LBB50_6:
	s_waitcnt vmcnt(1)
	v_pk_mov_b32 v[0:1], v[6:7], v[6:7] op_sel:[0,1]
	v_pk_mov_b32 v[12:13], v[4:5], v[4:5] op_sel:[0,1]
	;; [unrolled: 1-line block ×3, first 2 shown]
.LBB50_7:
	s_add_u32 s0, s2, s4
	s_addc_u32 s1, s3, s5
	v_mov_b32_e32 v4, s1
	v_add_co_u32_e32 v5, vcc, s0, v14
	v_addc_co_u32_e32 v6, vcc, 0, v4, vcc
	v_add_co_u32_e32 v4, vcc, 0x1000, v5
	v_addc_co_u32_e32 v5, vcc, 0, v6, vcc
	global_store_dwordx2 v14, v[10:11], s[0:1]
	global_store_dwordx2 v14, v[12:13], s[0:1] offset:2048
	global_store_dwordx2 v[4:5], v[0:1], off
	s_waitcnt vmcnt(3)
	global_store_dwordx2 v[4:5], v[2:3], off offset:2048
	s_endpgm
	.section	.rodata,"a",@progbits
	.p2align	6, 0x0
	.amdhsa_kernel _Z6kernelI13subtract_leftLj256ELj4ELb1EJPxS1_jEEvDpT3_
		.amdhsa_group_segment_fixed_size 4096
		.amdhsa_private_segment_fixed_size 0
		.amdhsa_kernarg_size 20
		.amdhsa_user_sgpr_count 6
		.amdhsa_user_sgpr_private_segment_buffer 1
		.amdhsa_user_sgpr_dispatch_ptr 0
		.amdhsa_user_sgpr_queue_ptr 0
		.amdhsa_user_sgpr_kernarg_segment_ptr 1
		.amdhsa_user_sgpr_dispatch_id 0
		.amdhsa_user_sgpr_flat_scratch_init 0
		.amdhsa_user_sgpr_kernarg_preload_length 0
		.amdhsa_user_sgpr_kernarg_preload_offset 0
		.amdhsa_user_sgpr_private_segment_size 0
		.amdhsa_uses_dynamic_stack 0
		.amdhsa_system_sgpr_private_segment_wavefront_offset 0
		.amdhsa_system_sgpr_workgroup_id_x 1
		.amdhsa_system_sgpr_workgroup_id_y 0
		.amdhsa_system_sgpr_workgroup_id_z 0
		.amdhsa_system_sgpr_workgroup_info 0
		.amdhsa_system_vgpr_workitem_id 0
		.amdhsa_next_free_vgpr 16
		.amdhsa_next_free_sgpr 8
		.amdhsa_accum_offset 16
		.amdhsa_reserve_vcc 1
		.amdhsa_reserve_flat_scratch 0
		.amdhsa_float_round_mode_32 0
		.amdhsa_float_round_mode_16_64 0
		.amdhsa_float_denorm_mode_32 3
		.amdhsa_float_denorm_mode_16_64 3
		.amdhsa_dx10_clamp 1
		.amdhsa_ieee_mode 1
		.amdhsa_fp16_overflow 0
		.amdhsa_tg_split 0
		.amdhsa_exception_fp_ieee_invalid_op 0
		.amdhsa_exception_fp_denorm_src 0
		.amdhsa_exception_fp_ieee_div_zero 0
		.amdhsa_exception_fp_ieee_overflow 0
		.amdhsa_exception_fp_ieee_underflow 0
		.amdhsa_exception_fp_ieee_inexact 0
		.amdhsa_exception_int_div_zero 0
	.end_amdhsa_kernel
	.section	.text._Z6kernelI13subtract_leftLj256ELj4ELb1EJPxS1_jEEvDpT3_,"axG",@progbits,_Z6kernelI13subtract_leftLj256ELj4ELb1EJPxS1_jEEvDpT3_,comdat
.Lfunc_end50:
	.size	_Z6kernelI13subtract_leftLj256ELj4ELb1EJPxS1_jEEvDpT3_, .Lfunc_end50-_Z6kernelI13subtract_leftLj256ELj4ELb1EJPxS1_jEEvDpT3_
                                        ; -- End function
	.section	.AMDGPU.csdata,"",@progbits
; Kernel info:
; codeLenInByte = 412
; NumSgprs: 12
; NumVgprs: 16
; NumAgprs: 0
; TotalNumVgprs: 16
; ScratchSize: 0
; MemoryBound: 0
; FloatMode: 240
; IeeeMode: 1
; LDSByteSize: 4096 bytes/workgroup (compile time only)
; SGPRBlocks: 1
; VGPRBlocks: 1
; NumSGPRsForWavesPerEU: 12
; NumVGPRsForWavesPerEU: 16
; AccumOffset: 16
; Occupancy: 8
; WaveLimiterHint : 1
; COMPUTE_PGM_RSRC2:SCRATCH_EN: 0
; COMPUTE_PGM_RSRC2:USER_SGPR: 6
; COMPUTE_PGM_RSRC2:TRAP_HANDLER: 0
; COMPUTE_PGM_RSRC2:TGID_X_EN: 1
; COMPUTE_PGM_RSRC2:TGID_Y_EN: 0
; COMPUTE_PGM_RSRC2:TGID_Z_EN: 0
; COMPUTE_PGM_RSRC2:TIDIG_COMP_CNT: 0
; COMPUTE_PGM_RSRC3_GFX90A:ACCUM_OFFSET: 3
; COMPUTE_PGM_RSRC3_GFX90A:TG_SPLIT: 0
	.section	.text._Z6kernelI13subtract_leftLj256ELj8ELb1EJPxS1_jEEvDpT3_,"axG",@progbits,_Z6kernelI13subtract_leftLj256ELj8ELb1EJPxS1_jEEvDpT3_,comdat
	.protected	_Z6kernelI13subtract_leftLj256ELj8ELb1EJPxS1_jEEvDpT3_ ; -- Begin function _Z6kernelI13subtract_leftLj256ELj8ELb1EJPxS1_jEEvDpT3_
	.globl	_Z6kernelI13subtract_leftLj256ELj8ELb1EJPxS1_jEEvDpT3_
	.p2align	8
	.type	_Z6kernelI13subtract_leftLj256ELj8ELb1EJPxS1_jEEvDpT3_,@function
_Z6kernelI13subtract_leftLj256ELj8ELb1EJPxS1_jEEvDpT3_: ; @_Z6kernelI13subtract_leftLj256ELj8ELb1EJPxS1_jEEvDpT3_
; %bb.0:
	s_load_dwordx4 s[0:3], s[4:5], 0x0
	s_load_dword s7, s[4:5], 0x10
	s_lshl_b32 s4, s6, 11
	s_mov_b32 s5, 0
	s_lshl_b64 s[4:5], s[4:5], 3
	s_waitcnt lgkmcnt(0)
	s_add_u32 s0, s0, s4
	s_addc_u32 s1, s1, s5
	v_lshlrev_b32_e32 v18, 3, v0
	v_mov_b32_e32 v1, s1
	v_add_co_u32_e32 v12, vcc, s0, v18
	v_addc_co_u32_e32 v1, vcc, 0, v1, vcc
	s_movk_i32 s6, 0x1000
	v_add_co_u32_e32 v10, vcc, s6, v12
	v_addc_co_u32_e32 v11, vcc, 0, v1, vcc
	v_add_co_u32_e32 v20, vcc, 0x2000, v12
	v_addc_co_u32_e32 v21, vcc, 0, v1, vcc
	v_add_co_u32_e32 v22, vcc, 0x3000, v12
	global_load_dwordx2 v[6:7], v18, s[0:1]
	global_load_dwordx2 v[8:9], v18, s[0:1] offset:2048
	global_load_dwordx2 v[2:3], v[10:11], off
	global_load_dwordx2 v[4:5], v[10:11], off offset:2048
	v_addc_co_u32_e32 v23, vcc, 0, v1, vcc
	global_load_dwordx2 v[14:15], v[20:21], off
	global_load_dwordx2 v[16:17], v[20:21], off offset:2048
	global_load_dwordx2 v[10:11], v[22:23], off
	global_load_dwordx2 v[12:13], v[22:23], off offset:2048
	s_cmp_eq_u32 s7, 0
	s_cbranch_scc1 .LBB51_5
; %bb.1:
	v_cmp_ne_u32_e32 vcc, 0, v0
	v_add_u32_e32 v19, -8, v18
	s_branch .LBB51_3
.LBB51_2:                               ;   in Loop: Header=BB51_3 Depth=1
	s_or_b64 exec, exec, s[0:1]
	v_sub_co_u32_e64 v20, s[0:1], v12, v10
	v_subb_co_u32_e64 v21, s[0:1], v13, v11, s[0:1]
	v_sub_co_u32_e64 v22, s[0:1], v10, v16
	v_subb_co_u32_e64 v23, s[0:1], v11, v17, s[0:1]
	;; [unrolled: 2-line block ×7, first 2 shown]
	s_waitcnt lgkmcnt(0)
	v_sub_co_u32_e64 v0, s[0:1], v6, v0
	v_subb_co_u32_e64 v1, s[0:1], v7, v1, s[0:1]
	v_add_co_u32_e64 v6, s[0:1], v0, v6
	v_addc_co_u32_e64 v7, s[0:1], v1, v7, s[0:1]
	v_add_co_u32_e64 v8, s[0:1], v32, v8
	v_addc_co_u32_e64 v9, s[0:1], v33, v9, s[0:1]
	;; [unrolled: 2-line block ×7, first 2 shown]
	v_add_co_u32_e64 v12, s[0:1], v20, v12
	s_add_i32 s7, s7, -1
	v_addc_co_u32_e64 v13, s[0:1], v21, v13, s[0:1]
	s_cmp_lg_u32 s7, 0
	s_barrier
	s_cbranch_scc0 .LBB51_5
.LBB51_3:                               ; =>This Inner Loop Header: Depth=1
	v_mov_b32_e32 v0, 0x7b
	v_mov_b32_e32 v1, 0
	s_waitcnt vmcnt(0)
	ds_write_b64 v18, v[12:13]
	s_waitcnt lgkmcnt(0)
	s_barrier
	s_and_saveexec_b64 s[0:1], vcc
	s_cbranch_execz .LBB51_2
; %bb.4:                                ;   in Loop: Header=BB51_3 Depth=1
	ds_read_b64 v[0:1], v19
	s_branch .LBB51_2
.LBB51_5:
	s_add_u32 s0, s2, s4
	s_addc_u32 s1, s3, s5
	v_mov_b32_e32 v0, s1
	v_add_co_u32_e32 v19, vcc, s0, v18
	v_addc_co_u32_e32 v20, vcc, 0, v0, vcc
	v_add_co_u32_e32 v0, vcc, 0x1000, v19
	v_addc_co_u32_e32 v1, vcc, 0, v20, vcc
	s_waitcnt vmcnt(7)
	global_store_dwordx2 v18, v[6:7], s[0:1]
	s_waitcnt vmcnt(7)
	global_store_dwordx2 v18, v[8:9], s[0:1] offset:2048
	s_waitcnt vmcnt(7)
	global_store_dwordx2 v[0:1], v[2:3], off
	s_waitcnt vmcnt(7)
	global_store_dwordx2 v[0:1], v[4:5], off offset:2048
	v_add_co_u32_e32 v0, vcc, 0x2000, v19
	v_addc_co_u32_e32 v1, vcc, 0, v20, vcc
	s_waitcnt vmcnt(7)
	global_store_dwordx2 v[0:1], v[14:15], off
	s_waitcnt vmcnt(7)
	global_store_dwordx2 v[0:1], v[16:17], off offset:2048
	v_add_co_u32_e32 v0, vcc, 0x3000, v19
	v_addc_co_u32_e32 v1, vcc, 0, v20, vcc
	s_waitcnt vmcnt(7)
	global_store_dwordx2 v[0:1], v[10:11], off
	s_waitcnt vmcnt(7)
	global_store_dwordx2 v[0:1], v[12:13], off offset:2048
	s_endpgm
	.section	.rodata,"a",@progbits
	.p2align	6, 0x0
	.amdhsa_kernel _Z6kernelI13subtract_leftLj256ELj8ELb1EJPxS1_jEEvDpT3_
		.amdhsa_group_segment_fixed_size 4096
		.amdhsa_private_segment_fixed_size 0
		.amdhsa_kernarg_size 20
		.amdhsa_user_sgpr_count 6
		.amdhsa_user_sgpr_private_segment_buffer 1
		.amdhsa_user_sgpr_dispatch_ptr 0
		.amdhsa_user_sgpr_queue_ptr 0
		.amdhsa_user_sgpr_kernarg_segment_ptr 1
		.amdhsa_user_sgpr_dispatch_id 0
		.amdhsa_user_sgpr_flat_scratch_init 0
		.amdhsa_user_sgpr_kernarg_preload_length 0
		.amdhsa_user_sgpr_kernarg_preload_offset 0
		.amdhsa_user_sgpr_private_segment_size 0
		.amdhsa_uses_dynamic_stack 0
		.amdhsa_system_sgpr_private_segment_wavefront_offset 0
		.amdhsa_system_sgpr_workgroup_id_x 1
		.amdhsa_system_sgpr_workgroup_id_y 0
		.amdhsa_system_sgpr_workgroup_id_z 0
		.amdhsa_system_sgpr_workgroup_info 0
		.amdhsa_system_vgpr_workitem_id 0
		.amdhsa_next_free_vgpr 34
		.amdhsa_next_free_sgpr 8
		.amdhsa_accum_offset 36
		.amdhsa_reserve_vcc 1
		.amdhsa_reserve_flat_scratch 0
		.amdhsa_float_round_mode_32 0
		.amdhsa_float_round_mode_16_64 0
		.amdhsa_float_denorm_mode_32 3
		.amdhsa_float_denorm_mode_16_64 3
		.amdhsa_dx10_clamp 1
		.amdhsa_ieee_mode 1
		.amdhsa_fp16_overflow 0
		.amdhsa_tg_split 0
		.amdhsa_exception_fp_ieee_invalid_op 0
		.amdhsa_exception_fp_denorm_src 0
		.amdhsa_exception_fp_ieee_div_zero 0
		.amdhsa_exception_fp_ieee_overflow 0
		.amdhsa_exception_fp_ieee_underflow 0
		.amdhsa_exception_fp_ieee_inexact 0
		.amdhsa_exception_int_div_zero 0
	.end_amdhsa_kernel
	.section	.text._Z6kernelI13subtract_leftLj256ELj8ELb1EJPxS1_jEEvDpT3_,"axG",@progbits,_Z6kernelI13subtract_leftLj256ELj8ELb1EJPxS1_jEEvDpT3_,comdat
.Lfunc_end51:
	.size	_Z6kernelI13subtract_leftLj256ELj8ELb1EJPxS1_jEEvDpT3_, .Lfunc_end51-_Z6kernelI13subtract_leftLj256ELj8ELb1EJPxS1_jEEvDpT3_
                                        ; -- End function
	.section	.AMDGPU.csdata,"",@progbits
; Kernel info:
; codeLenInByte = 664
; NumSgprs: 12
; NumVgprs: 34
; NumAgprs: 0
; TotalNumVgprs: 34
; ScratchSize: 0
; MemoryBound: 0
; FloatMode: 240
; IeeeMode: 1
; LDSByteSize: 4096 bytes/workgroup (compile time only)
; SGPRBlocks: 1
; VGPRBlocks: 4
; NumSGPRsForWavesPerEU: 12
; NumVGPRsForWavesPerEU: 34
; AccumOffset: 36
; Occupancy: 8
; WaveLimiterHint : 1
; COMPUTE_PGM_RSRC2:SCRATCH_EN: 0
; COMPUTE_PGM_RSRC2:USER_SGPR: 6
; COMPUTE_PGM_RSRC2:TRAP_HANDLER: 0
; COMPUTE_PGM_RSRC2:TGID_X_EN: 1
; COMPUTE_PGM_RSRC2:TGID_Y_EN: 0
; COMPUTE_PGM_RSRC2:TGID_Z_EN: 0
; COMPUTE_PGM_RSRC2:TIDIG_COMP_CNT: 0
; COMPUTE_PGM_RSRC3_GFX90A:ACCUM_OFFSET: 8
; COMPUTE_PGM_RSRC3_GFX90A:TG_SPLIT: 0
	.section	.text._Z6kernelI13subtract_leftLj256ELj16ELb1EJPxS1_jEEvDpT3_,"axG",@progbits,_Z6kernelI13subtract_leftLj256ELj16ELb1EJPxS1_jEEvDpT3_,comdat
	.protected	_Z6kernelI13subtract_leftLj256ELj16ELb1EJPxS1_jEEvDpT3_ ; -- Begin function _Z6kernelI13subtract_leftLj256ELj16ELb1EJPxS1_jEEvDpT3_
	.globl	_Z6kernelI13subtract_leftLj256ELj16ELb1EJPxS1_jEEvDpT3_
	.p2align	8
	.type	_Z6kernelI13subtract_leftLj256ELj16ELb1EJPxS1_jEEvDpT3_,@function
_Z6kernelI13subtract_leftLj256ELj16ELb1EJPxS1_jEEvDpT3_: ; @_Z6kernelI13subtract_leftLj256ELj16ELb1EJPxS1_jEEvDpT3_
; %bb.0:
	s_load_dwordx4 s[0:3], s[4:5], 0x0
	s_load_dword s7, s[4:5], 0x10
	s_lshl_b32 s4, s6, 12
	s_mov_b32 s5, 0
	s_lshl_b64 s[4:5], s[4:5], 3
	s_waitcnt lgkmcnt(0)
	s_add_u32 s0, s0, s4
	s_addc_u32 s1, s1, s5
	v_lshlrev_b32_e32 v34, 3, v0
	v_mov_b32_e32 v1, s1
	v_add_co_u32_e32 v32, vcc, s0, v34
	v_addc_co_u32_e32 v1, vcc, 0, v1, vcc
	s_movk_i32 s6, 0x1000
	v_add_co_u32_e32 v12, vcc, s6, v32
	v_addc_co_u32_e32 v13, vcc, 0, v1, vcc
	s_movk_i32 s6, 0x2000
	;; [unrolled: 3-line block ×4, first 2 shown]
	v_add_co_u32_e32 v16, vcc, s6, v32
	global_load_dwordx2 v[2:3], v[36:37], off
	v_addc_co_u32_e32 v17, vcc, 0, v1, vcc
	global_load_dwordx2 v[28:29], v34, s[0:1]
	global_load_dwordx2 v[30:31], v34, s[0:1] offset:2048
	global_load_dwordx2 v[26:27], v[12:13], off offset:2048
	global_load_dwordx2 v[8:9], v[14:15], off offset:2048
	;; [unrolled: 1-line block ×3, first 2 shown]
	global_load_dwordx2 v[10:11], v[16:17], off offset:-4096
	global_load_dwordx2 v[4:5], v[16:17], off
	global_load_dwordx2 v[6:7], v[16:17], off offset:2048
	s_movk_i32 s0, 0x5000
	v_add_co_u32_e32 v16, vcc, s0, v32
	v_addc_co_u32_e32 v17, vcc, 0, v1, vcc
	v_add_co_u32_e32 v22, vcc, 0x6000, v32
	v_addc_co_u32_e32 v23, vcc, 0, v1, vcc
	v_add_co_u32_e32 v38, vcc, 0x7000, v32
	global_load_dwordx2 v[18:19], v[16:17], off
	global_load_dwordx2 v[20:21], v[16:17], off offset:2048
	global_load_dwordx2 v[12:13], v[22:23], off
	global_load_dwordx2 v[14:15], v[22:23], off offset:2048
	v_addc_co_u32_e32 v39, vcc, 0, v1, vcc
	global_load_dwordx2 v[16:17], v[38:39], off
	global_load_dwordx2 v[32:33], v[36:37], off offset:-4096
	global_load_dwordx2 v[22:23], v[38:39], off offset:2048
	s_cmp_eq_u32 s7, 0
	s_cbranch_scc1 .LBB52_5
; %bb.1:
	v_cmp_ne_u32_e32 vcc, 0, v0
	v_add_u32_e32 v35, -8, v34
	s_branch .LBB52_3
.LBB52_2:                               ;   in Loop: Header=BB52_3 Depth=1
	s_or_b64 exec, exec, s[0:1]
	v_sub_co_u32_e64 v36, s[0:1], v22, v16
	v_subb_co_u32_e64 v37, s[0:1], v23, v17, s[0:1]
	v_sub_co_u32_e64 v38, s[0:1], v16, v14
	v_subb_co_u32_e64 v39, s[0:1], v17, v15, s[0:1]
	v_sub_co_u32_e64 v40, s[0:1], v14, v12
	v_subb_co_u32_e64 v41, s[0:1], v15, v13, s[0:1]
	v_sub_co_u32_e64 v42, s[0:1], v12, v20
	v_subb_co_u32_e64 v43, s[0:1], v13, v21, s[0:1]
	v_sub_co_u32_e64 v44, s[0:1], v20, v18
	v_subb_co_u32_e64 v45, s[0:1], v21, v19, s[0:1]
	v_sub_co_u32_e64 v46, s[0:1], v18, v6
	v_subb_co_u32_e64 v47, s[0:1], v19, v7, s[0:1]
	v_sub_co_u32_e64 v48, s[0:1], v6, v4
	v_subb_co_u32_e64 v49, s[0:1], v7, v5, s[0:1]
	v_sub_co_u32_e64 v50, s[0:1], v4, v8
	v_subb_co_u32_e64 v51, s[0:1], v5, v9, s[0:1]
	v_sub_co_u32_e64 v52, s[0:1], v8, v10
	v_subb_co_u32_e64 v53, s[0:1], v9, v11, s[0:1]
	v_sub_co_u32_e64 v54, s[0:1], v10, v24
	v_subb_co_u32_e64 v55, s[0:1], v11, v25, s[0:1]
	v_sub_co_u32_e64 v56, s[0:1], v24, v2
	v_subb_co_u32_e64 v57, s[0:1], v25, v3, s[0:1]
	v_sub_co_u32_e64 v58, s[0:1], v2, v26
	v_subb_co_u32_e64 v59, s[0:1], v3, v27, s[0:1]
	s_waitcnt lgkmcnt(0)
	v_sub_co_u32_e64 v0, s[0:1], v28, v0
	v_subb_co_u32_e64 v1, s[0:1], v29, v1, s[0:1]
	v_sub_co_u32_e64 v60, s[0:1], v30, v28
	v_subb_co_u32_e64 v61, s[0:1], v31, v29, s[0:1]
	v_add_co_u32_e64 v28, s[0:1], v0, v28
	v_addc_co_u32_e64 v29, s[0:1], v1, v29, s[0:1]
	v_sub_co_u32_e64 v0, s[0:1], v32, v30
	v_subb_co_u32_e64 v1, s[0:1], v33, v31, s[0:1]
	v_add_co_u32_e64 v30, s[0:1], v60, v30
	v_addc_co_u32_e64 v31, s[0:1], v61, v31, s[0:1]
	;; [unrolled: 4-line block ×3, first 2 shown]
	v_add_co_u32_e64 v26, s[0:1], v60, v26
	v_addc_co_u32_e64 v27, s[0:1], v61, v27, s[0:1]
	v_add_co_u32_e64 v2, s[0:1], v58, v2
	v_addc_co_u32_e64 v3, s[0:1], v59, v3, s[0:1]
	;; [unrolled: 2-line block ×12, first 2 shown]
	v_add_co_u32_e64 v22, s[0:1], v36, v22
	s_add_i32 s7, s7, -1
	v_addc_co_u32_e64 v23, s[0:1], v37, v23, s[0:1]
	s_cmp_lg_u32 s7, 0
	s_barrier
	s_cbranch_scc0 .LBB52_5
.LBB52_3:                               ; =>This Inner Loop Header: Depth=1
	v_mov_b32_e32 v0, 0x7b
	v_mov_b32_e32 v1, 0
	s_waitcnt vmcnt(0)
	ds_write_b64 v34, v[22:23]
	s_waitcnt lgkmcnt(0)
	s_barrier
	s_and_saveexec_b64 s[0:1], vcc
	s_cbranch_execz .LBB52_2
; %bb.4:                                ;   in Loop: Header=BB52_3 Depth=1
	ds_read_b64 v[0:1], v35
	s_branch .LBB52_2
.LBB52_5:
	s_add_u32 s0, s2, s4
	s_addc_u32 s1, s3, s5
	v_mov_b32_e32 v0, s1
	v_add_co_u32_e32 v35, vcc, s0, v34
	v_addc_co_u32_e32 v36, vcc, 0, v0, vcc
	v_add_co_u32_e32 v0, vcc, 0x1000, v35
	v_addc_co_u32_e32 v1, vcc, 0, v36, vcc
	s_waitcnt vmcnt(14)
	global_store_dwordx2 v34, v[28:29], s[0:1]
	s_waitcnt vmcnt(14)
	global_store_dwordx2 v34, v[30:31], s[0:1] offset:2048
	s_waitcnt vmcnt(3)
	global_store_dwordx2 v[0:1], v[32:33], off
	global_store_dwordx2 v[0:1], v[26:27], off offset:2048
	v_add_co_u32_e32 v0, vcc, 0x2000, v35
	v_addc_co_u32_e32 v1, vcc, 0, v36, vcc
	global_store_dwordx2 v[0:1], v[2:3], off
	global_store_dwordx2 v[0:1], v[24:25], off offset:2048
	v_add_co_u32_e32 v0, vcc, 0x3000, v35
	v_addc_co_u32_e32 v1, vcc, 0, v36, vcc
	;; [unrolled: 4-line block ×6, first 2 shown]
	global_store_dwordx2 v[0:1], v[16:17], off
	s_waitcnt vmcnt(15)
	global_store_dwordx2 v[0:1], v[22:23], off offset:2048
	s_endpgm
	.section	.rodata,"a",@progbits
	.p2align	6, 0x0
	.amdhsa_kernel _Z6kernelI13subtract_leftLj256ELj16ELb1EJPxS1_jEEvDpT3_
		.amdhsa_group_segment_fixed_size 4096
		.amdhsa_private_segment_fixed_size 0
		.amdhsa_kernarg_size 20
		.amdhsa_user_sgpr_count 6
		.amdhsa_user_sgpr_private_segment_buffer 1
		.amdhsa_user_sgpr_dispatch_ptr 0
		.amdhsa_user_sgpr_queue_ptr 0
		.amdhsa_user_sgpr_kernarg_segment_ptr 1
		.amdhsa_user_sgpr_dispatch_id 0
		.amdhsa_user_sgpr_flat_scratch_init 0
		.amdhsa_user_sgpr_kernarg_preload_length 0
		.amdhsa_user_sgpr_kernarg_preload_offset 0
		.amdhsa_user_sgpr_private_segment_size 0
		.amdhsa_uses_dynamic_stack 0
		.amdhsa_system_sgpr_private_segment_wavefront_offset 0
		.amdhsa_system_sgpr_workgroup_id_x 1
		.amdhsa_system_sgpr_workgroup_id_y 0
		.amdhsa_system_sgpr_workgroup_id_z 0
		.amdhsa_system_sgpr_workgroup_info 0
		.amdhsa_system_vgpr_workitem_id 0
		.amdhsa_next_free_vgpr 62
		.amdhsa_next_free_sgpr 8
		.amdhsa_accum_offset 64
		.amdhsa_reserve_vcc 1
		.amdhsa_reserve_flat_scratch 0
		.amdhsa_float_round_mode_32 0
		.amdhsa_float_round_mode_16_64 0
		.amdhsa_float_denorm_mode_32 3
		.amdhsa_float_denorm_mode_16_64 3
		.amdhsa_dx10_clamp 1
		.amdhsa_ieee_mode 1
		.amdhsa_fp16_overflow 0
		.amdhsa_tg_split 0
		.amdhsa_exception_fp_ieee_invalid_op 0
		.amdhsa_exception_fp_denorm_src 0
		.amdhsa_exception_fp_ieee_div_zero 0
		.amdhsa_exception_fp_ieee_overflow 0
		.amdhsa_exception_fp_ieee_underflow 0
		.amdhsa_exception_fp_ieee_inexact 0
		.amdhsa_exception_int_div_zero 0
	.end_amdhsa_kernel
	.section	.text._Z6kernelI13subtract_leftLj256ELj16ELb1EJPxS1_jEEvDpT3_,"axG",@progbits,_Z6kernelI13subtract_leftLj256ELj16ELb1EJPxS1_jEEvDpT3_,comdat
.Lfunc_end52:
	.size	_Z6kernelI13subtract_leftLj256ELj16ELb1EJPxS1_jEEvDpT3_, .Lfunc_end52-_Z6kernelI13subtract_leftLj256ELj16ELb1EJPxS1_jEEvDpT3_
                                        ; -- End function
	.section	.AMDGPU.csdata,"",@progbits
; Kernel info:
; codeLenInByte = 1128
; NumSgprs: 12
; NumVgprs: 62
; NumAgprs: 0
; TotalNumVgprs: 62
; ScratchSize: 0
; MemoryBound: 0
; FloatMode: 240
; IeeeMode: 1
; LDSByteSize: 4096 bytes/workgroup (compile time only)
; SGPRBlocks: 1
; VGPRBlocks: 7
; NumSGPRsForWavesPerEU: 12
; NumVGPRsForWavesPerEU: 62
; AccumOffset: 64
; Occupancy: 8
; WaveLimiterHint : 1
; COMPUTE_PGM_RSRC2:SCRATCH_EN: 0
; COMPUTE_PGM_RSRC2:USER_SGPR: 6
; COMPUTE_PGM_RSRC2:TRAP_HANDLER: 0
; COMPUTE_PGM_RSRC2:TGID_X_EN: 1
; COMPUTE_PGM_RSRC2:TGID_Y_EN: 0
; COMPUTE_PGM_RSRC2:TGID_Z_EN: 0
; COMPUTE_PGM_RSRC2:TIDIG_COMP_CNT: 0
; COMPUTE_PGM_RSRC3_GFX90A:ACCUM_OFFSET: 15
; COMPUTE_PGM_RSRC3_GFX90A:TG_SPLIT: 0
	.section	.text._Z6kernelI13subtract_leftLj256ELj32ELb1EJPxS1_jEEvDpT3_,"axG",@progbits,_Z6kernelI13subtract_leftLj256ELj32ELb1EJPxS1_jEEvDpT3_,comdat
	.protected	_Z6kernelI13subtract_leftLj256ELj32ELb1EJPxS1_jEEvDpT3_ ; -- Begin function _Z6kernelI13subtract_leftLj256ELj32ELb1EJPxS1_jEEvDpT3_
	.globl	_Z6kernelI13subtract_leftLj256ELj32ELb1EJPxS1_jEEvDpT3_
	.p2align	8
	.type	_Z6kernelI13subtract_leftLj256ELj32ELb1EJPxS1_jEEvDpT3_,@function
_Z6kernelI13subtract_leftLj256ELj32ELb1EJPxS1_jEEvDpT3_: ; @_Z6kernelI13subtract_leftLj256ELj32ELb1EJPxS1_jEEvDpT3_
; %bb.0:
	s_load_dwordx4 s[0:3], s[4:5], 0x0
	s_load_dword s7, s[4:5], 0x10
	s_lshl_b32 s4, s6, 13
	s_mov_b32 s5, 0
	s_lshl_b64 s[4:5], s[4:5], 3
	s_waitcnt lgkmcnt(0)
	s_add_u32 s0, s0, s4
	s_addc_u32 s1, s1, s5
	v_lshlrev_b32_e32 v66, 3, v0
	v_mov_b32_e32 v1, s1
	v_add_co_u32_e32 v52, vcc, s0, v66
	v_addc_co_u32_e32 v1, vcc, 0, v1, vcc
	s_movk_i32 s6, 0x1000
	v_add_co_u32_e32 v68, vcc, s6, v52
	v_addc_co_u32_e32 v69, vcc, 0, v1, vcc
	s_movk_i32 s6, 0x2000
	;; [unrolled: 3-line block ×6, first 2 shown]
	global_load_dwordx2 v[6:7], v[8:9], off offset:2048
	global_load_dwordx2 v[2:3], v[72:73], off
	global_load_dwordx2 v[4:5], v[72:73], off offset:2048
	v_add_co_u32_e32 v8, vcc, s6, v52
	v_addc_co_u32_e32 v9, vcc, 0, v1, vcc
	s_movk_i32 s6, 0x7000
	v_add_co_u32_e32 v38, vcc, s6, v52
	v_addc_co_u32_e32 v39, vcc, 0, v1, vcc
	s_mov_b32 s6, 0x8000
	v_add_co_u32_e32 v22, vcc, s6, v52
	v_addc_co_u32_e32 v23, vcc, 0, v1, vcc
	s_mov_b32 s6, 0x9000
	;; [unrolled: 3-line block ×6, first 2 shown]
	v_add_co_u32_e32 v74, vcc, s6, v52
	v_addc_co_u32_e32 v75, vcc, 0, v1, vcc
	v_add_co_u32_e32 v76, vcc, 0xe000, v52
	v_addc_co_u32_e32 v77, vcc, 0, v1, vcc
	v_add_co_u32_e32 v78, vcc, 0xf000, v52
	global_load_dwordx2 v[26:27], v[8:9], off offset:-4096
	global_load_dwordx2 v[12:13], v[8:9], off
	global_load_dwordx2 v[14:15], v[8:9], off offset:2048
	global_load_dwordx2 v[10:11], v[22:23], off offset:-4096
	global_load_dwordx2 v[18:19], v[22:23], off
	global_load_dwordx2 v[20:21], v[22:23], off offset:2048
	global_load_dwordx2 v[16:17], v[42:43], off offset:-4096
	s_nop 0
	global_load_dwordx2 v[8:9], v[42:43], off
	global_load_dwordx2 v[50:51], v[36:37], off offset:2048
	global_load_dwordx2 v[48:49], v[38:39], off offset:2048
	;; [unrolled: 1-line block ×5, first 2 shown]
	global_load_dwordx2 v[30:31], v[46:47], off offset:-4096
	global_load_dwordx2 v[22:23], v[46:47], off
	global_load_dwordx2 v[24:25], v[46:47], off offset:2048
	v_addc_co_u32_e32 v79, vcc, 0, v1, vcc
	global_load_dwordx2 v[44:45], v[74:75], off
	global_load_dwordx2 v[46:47], v[74:75], off offset:2048
	global_load_dwordx2 v[36:37], v[76:77], off
	global_load_dwordx2 v[38:39], v[76:77], off offset:2048
	global_load_dwordx2 v[52:53], v[72:73], off offset:-4096
	global_load_dwordx2 v[54:55], v[70:71], off offset:2048
	global_load_dwordx2 v[40:41], v[78:79], off
	global_load_dwordx2 v[56:57], v[70:71], off
	global_load_dwordx2 v[58:59], v[70:71], off offset:-4096
	global_load_dwordx2 v[42:43], v[78:79], off offset:2048
	global_load_dwordx2 v[62:63], v66, s[0:1]
	global_load_dwordx2 v[60:61], v[68:69], off offset:2048
	global_load_dwordx2 v[64:65], v66, s[0:1] offset:2048
	s_cmp_eq_u32 s7, 0
	s_cbranch_scc1 .LBB53_5
; %bb.1:
	v_cmp_ne_u32_e32 vcc, 0, v0
	v_add_u32_e32 v67, -8, v66
	s_branch .LBB53_3
.LBB53_2:                               ;   in Loop: Header=BB53_3 Depth=1
	s_or_b64 exec, exec, s[0:1]
	s_waitcnt vmcnt(2) lgkmcnt(0)
	v_sub_co_u32_e64 v0, s[0:1], v62, v0
	v_subb_co_u32_e64 v1, s[0:1], v63, v1, s[0:1]
	s_waitcnt vmcnt(0)
	v_sub_co_u32_e64 v68, s[0:1], v64, v62
	v_subb_co_u32_e64 v69, s[0:1], v65, v63, s[0:1]
	v_add_co_u32_e64 v62, s[0:1], v0, v62
	v_addc_co_u32_e64 v63, s[0:1], v1, v63, s[0:1]
	v_sub_co_u32_e64 v0, s[0:1], v58, v64
	v_subb_co_u32_e64 v1, s[0:1], v59, v65, s[0:1]
	v_add_co_u32_e64 v64, s[0:1], v68, v64
	v_addc_co_u32_e64 v65, s[0:1], v69, v65, s[0:1]
	;; [unrolled: 4-line block ×31, first 2 shown]
	v_add_co_u32_e64 v42, s[0:1], v68, v42
	s_add_i32 s7, s7, -1
	v_addc_co_u32_e64 v43, s[0:1], v69, v43, s[0:1]
	s_cmp_lg_u32 s7, 0
	s_barrier
	s_cbranch_scc0 .LBB53_5
.LBB53_3:                               ; =>This Inner Loop Header: Depth=1
	v_mov_b32_e32 v0, 0x7b
	v_mov_b32_e32 v1, 0
	s_waitcnt vmcnt(3)
	ds_write_b64 v66, v[42:43]
	s_waitcnt lgkmcnt(0)
	s_barrier
	s_and_saveexec_b64 s[0:1], vcc
	s_cbranch_execz .LBB53_2
; %bb.4:                                ;   in Loop: Header=BB53_3 Depth=1
	ds_read_b64 v[0:1], v67
	s_branch .LBB53_2
.LBB53_5:
	s_add_u32 s0, s2, s4
	s_addc_u32 s1, s3, s5
	v_mov_b32_e32 v0, s1
	v_add_co_u32_e32 v67, vcc, s0, v66
	v_addc_co_u32_e32 v68, vcc, 0, v0, vcc
	v_add_co_u32_e32 v0, vcc, 0x1000, v67
	v_addc_co_u32_e32 v1, vcc, 0, v68, vcc
	s_waitcnt vmcnt(2)
	global_store_dwordx2 v66, v[62:63], s[0:1]
	s_waitcnt vmcnt(1)
	global_store_dwordx2 v66, v[64:65], s[0:1] offset:2048
	global_store_dwordx2 v[0:1], v[58:59], off
	global_store_dwordx2 v[0:1], v[60:61], off offset:2048
	v_add_co_u32_e32 v0, vcc, 0x2000, v67
	v_addc_co_u32_e32 v1, vcc, 0, v68, vcc
	global_store_dwordx2 v[0:1], v[56:57], off
	global_store_dwordx2 v[0:1], v[54:55], off offset:2048
	v_add_co_u32_e32 v0, vcc, 0x3000, v67
	v_addc_co_u32_e32 v1, vcc, 0, v68, vcc
	;; [unrolled: 4-line block ×14, first 2 shown]
	global_store_dwordx2 v[0:1], v[40:41], off
	global_store_dwordx2 v[0:1], v[42:43], off offset:2048
	s_endpgm
	.section	.rodata,"a",@progbits
	.p2align	6, 0x0
	.amdhsa_kernel _Z6kernelI13subtract_leftLj256ELj32ELb1EJPxS1_jEEvDpT3_
		.amdhsa_group_segment_fixed_size 4096
		.amdhsa_private_segment_fixed_size 0
		.amdhsa_kernarg_size 20
		.amdhsa_user_sgpr_count 6
		.amdhsa_user_sgpr_private_segment_buffer 1
		.amdhsa_user_sgpr_dispatch_ptr 0
		.amdhsa_user_sgpr_queue_ptr 0
		.amdhsa_user_sgpr_kernarg_segment_ptr 1
		.amdhsa_user_sgpr_dispatch_id 0
		.amdhsa_user_sgpr_flat_scratch_init 0
		.amdhsa_user_sgpr_kernarg_preload_length 0
		.amdhsa_user_sgpr_kernarg_preload_offset 0
		.amdhsa_user_sgpr_private_segment_size 0
		.amdhsa_uses_dynamic_stack 0
		.amdhsa_system_sgpr_private_segment_wavefront_offset 0
		.amdhsa_system_sgpr_workgroup_id_x 1
		.amdhsa_system_sgpr_workgroup_id_y 0
		.amdhsa_system_sgpr_workgroup_id_z 0
		.amdhsa_system_sgpr_workgroup_info 0
		.amdhsa_system_vgpr_workitem_id 0
		.amdhsa_next_free_vgpr 80
		.amdhsa_next_free_sgpr 8
		.amdhsa_accum_offset 80
		.amdhsa_reserve_vcc 1
		.amdhsa_reserve_flat_scratch 0
		.amdhsa_float_round_mode_32 0
		.amdhsa_float_round_mode_16_64 0
		.amdhsa_float_denorm_mode_32 3
		.amdhsa_float_denorm_mode_16_64 3
		.amdhsa_dx10_clamp 1
		.amdhsa_ieee_mode 1
		.amdhsa_fp16_overflow 0
		.amdhsa_tg_split 0
		.amdhsa_exception_fp_ieee_invalid_op 0
		.amdhsa_exception_fp_denorm_src 0
		.amdhsa_exception_fp_ieee_div_zero 0
		.amdhsa_exception_fp_ieee_overflow 0
		.amdhsa_exception_fp_ieee_underflow 0
		.amdhsa_exception_fp_ieee_inexact 0
		.amdhsa_exception_int_div_zero 0
	.end_amdhsa_kernel
	.section	.text._Z6kernelI13subtract_leftLj256ELj32ELb1EJPxS1_jEEvDpT3_,"axG",@progbits,_Z6kernelI13subtract_leftLj256ELj32ELb1EJPxS1_jEEvDpT3_,comdat
.Lfunc_end53:
	.size	_Z6kernelI13subtract_leftLj256ELj32ELb1EJPxS1_jEEvDpT3_, .Lfunc_end53-_Z6kernelI13subtract_leftLj256ELj32ELb1EJPxS1_jEEvDpT3_
                                        ; -- End function
	.section	.AMDGPU.csdata,"",@progbits
; Kernel info:
; codeLenInByte = 2112
; NumSgprs: 12
; NumVgprs: 80
; NumAgprs: 0
; TotalNumVgprs: 80
; ScratchSize: 0
; MemoryBound: 0
; FloatMode: 240
; IeeeMode: 1
; LDSByteSize: 4096 bytes/workgroup (compile time only)
; SGPRBlocks: 1
; VGPRBlocks: 9
; NumSGPRsForWavesPerEU: 12
; NumVGPRsForWavesPerEU: 80
; AccumOffset: 80
; Occupancy: 6
; WaveLimiterHint : 1
; COMPUTE_PGM_RSRC2:SCRATCH_EN: 0
; COMPUTE_PGM_RSRC2:USER_SGPR: 6
; COMPUTE_PGM_RSRC2:TRAP_HANDLER: 0
; COMPUTE_PGM_RSRC2:TGID_X_EN: 1
; COMPUTE_PGM_RSRC2:TGID_Y_EN: 0
; COMPUTE_PGM_RSRC2:TGID_Z_EN: 0
; COMPUTE_PGM_RSRC2:TIDIG_COMP_CNT: 0
; COMPUTE_PGM_RSRC3_GFX90A:ACCUM_OFFSET: 19
; COMPUTE_PGM_RSRC3_GFX90A:TG_SPLIT: 0
	.section	.text._Z6kernelI13subtract_leftLj256ELj1ELb1EJPdS1_jEEvDpT3_,"axG",@progbits,_Z6kernelI13subtract_leftLj256ELj1ELb1EJPdS1_jEEvDpT3_,comdat
	.protected	_Z6kernelI13subtract_leftLj256ELj1ELb1EJPdS1_jEEvDpT3_ ; -- Begin function _Z6kernelI13subtract_leftLj256ELj1ELb1EJPdS1_jEEvDpT3_
	.globl	_Z6kernelI13subtract_leftLj256ELj1ELb1EJPdS1_jEEvDpT3_
	.p2align	8
	.type	_Z6kernelI13subtract_leftLj256ELj1ELb1EJPdS1_jEEvDpT3_,@function
_Z6kernelI13subtract_leftLj256ELj1ELb1EJPdS1_jEEvDpT3_: ; @_Z6kernelI13subtract_leftLj256ELj1ELb1EJPdS1_jEEvDpT3_
; %bb.0:
	s_load_dwordx4 s[0:3], s[4:5], 0x0
	s_load_dword s7, s[4:5], 0x10
	s_lshl_b32 s4, s6, 8
	s_mov_b32 s5, 0
	s_lshl_b64 s[4:5], s[4:5], 3
	s_waitcnt lgkmcnt(0)
	s_add_u32 s0, s0, s4
	s_addc_u32 s1, s1, s5
	v_lshlrev_b32_e32 v4, 3, v0
	global_load_dwordx2 v[2:3], v4, s[0:1]
	s_cmp_eq_u32 s7, 0
	s_cbranch_scc1 .LBB54_5
; %bb.1:
	v_cmp_ne_u32_e32 vcc, 0, v0
	v_add_u32_e32 v5, -8, v4
	s_branch .LBB54_3
.LBB54_2:                               ;   in Loop: Header=BB54_3 Depth=1
	s_or_b64 exec, exec, s[0:1]
	s_waitcnt lgkmcnt(0)
	v_add_f64 v[0:1], v[2:3], -v[0:1]
	s_add_i32 s7, s7, -1
	v_add_f64 v[2:3], v[2:3], v[0:1]
	s_cmp_lg_u32 s7, 0
	s_barrier
	s_cbranch_scc0 .LBB54_5
.LBB54_3:                               ; =>This Inner Loop Header: Depth=1
	v_mov_b32_e32 v0, 0
	v_mov_b32_e32 v1, 0x405ec000
	s_waitcnt vmcnt(0)
	ds_write_b64 v4, v[2:3]
	s_waitcnt lgkmcnt(0)
	s_barrier
	s_and_saveexec_b64 s[0:1], vcc
	s_cbranch_execz .LBB54_2
; %bb.4:                                ;   in Loop: Header=BB54_3 Depth=1
	ds_read_b64 v[0:1], v5
	s_branch .LBB54_2
.LBB54_5:
	s_add_u32 s0, s2, s4
	s_addc_u32 s1, s3, s5
	s_waitcnt vmcnt(0)
	global_store_dwordx2 v4, v[2:3], s[0:1]
	s_endpgm
	.section	.rodata,"a",@progbits
	.p2align	6, 0x0
	.amdhsa_kernel _Z6kernelI13subtract_leftLj256ELj1ELb1EJPdS1_jEEvDpT3_
		.amdhsa_group_segment_fixed_size 4096
		.amdhsa_private_segment_fixed_size 0
		.amdhsa_kernarg_size 20
		.amdhsa_user_sgpr_count 6
		.amdhsa_user_sgpr_private_segment_buffer 1
		.amdhsa_user_sgpr_dispatch_ptr 0
		.amdhsa_user_sgpr_queue_ptr 0
		.amdhsa_user_sgpr_kernarg_segment_ptr 1
		.amdhsa_user_sgpr_dispatch_id 0
		.amdhsa_user_sgpr_flat_scratch_init 0
		.amdhsa_user_sgpr_kernarg_preload_length 0
		.amdhsa_user_sgpr_kernarg_preload_offset 0
		.amdhsa_user_sgpr_private_segment_size 0
		.amdhsa_uses_dynamic_stack 0
		.amdhsa_system_sgpr_private_segment_wavefront_offset 0
		.amdhsa_system_sgpr_workgroup_id_x 1
		.amdhsa_system_sgpr_workgroup_id_y 0
		.amdhsa_system_sgpr_workgroup_id_z 0
		.amdhsa_system_sgpr_workgroup_info 0
		.amdhsa_system_vgpr_workitem_id 0
		.amdhsa_next_free_vgpr 6
		.amdhsa_next_free_sgpr 8
		.amdhsa_accum_offset 8
		.amdhsa_reserve_vcc 1
		.amdhsa_reserve_flat_scratch 0
		.amdhsa_float_round_mode_32 0
		.amdhsa_float_round_mode_16_64 0
		.amdhsa_float_denorm_mode_32 3
		.amdhsa_float_denorm_mode_16_64 3
		.amdhsa_dx10_clamp 1
		.amdhsa_ieee_mode 1
		.amdhsa_fp16_overflow 0
		.amdhsa_tg_split 0
		.amdhsa_exception_fp_ieee_invalid_op 0
		.amdhsa_exception_fp_denorm_src 0
		.amdhsa_exception_fp_ieee_div_zero 0
		.amdhsa_exception_fp_ieee_overflow 0
		.amdhsa_exception_fp_ieee_underflow 0
		.amdhsa_exception_fp_ieee_inexact 0
		.amdhsa_exception_int_div_zero 0
	.end_amdhsa_kernel
	.section	.text._Z6kernelI13subtract_leftLj256ELj1ELb1EJPdS1_jEEvDpT3_,"axG",@progbits,_Z6kernelI13subtract_leftLj256ELj1ELb1EJPdS1_jEEvDpT3_,comdat
.Lfunc_end54:
	.size	_Z6kernelI13subtract_leftLj256ELj1ELb1EJPdS1_jEEvDpT3_, .Lfunc_end54-_Z6kernelI13subtract_leftLj256ELj1ELb1EJPdS1_jEEvDpT3_
                                        ; -- End function
	.section	.AMDGPU.csdata,"",@progbits
; Kernel info:
; codeLenInByte = 188
; NumSgprs: 12
; NumVgprs: 6
; NumAgprs: 0
; TotalNumVgprs: 6
; ScratchSize: 0
; MemoryBound: 0
; FloatMode: 240
; IeeeMode: 1
; LDSByteSize: 4096 bytes/workgroup (compile time only)
; SGPRBlocks: 1
; VGPRBlocks: 0
; NumSGPRsForWavesPerEU: 12
; NumVGPRsForWavesPerEU: 6
; AccumOffset: 8
; Occupancy: 8
; WaveLimiterHint : 0
; COMPUTE_PGM_RSRC2:SCRATCH_EN: 0
; COMPUTE_PGM_RSRC2:USER_SGPR: 6
; COMPUTE_PGM_RSRC2:TRAP_HANDLER: 0
; COMPUTE_PGM_RSRC2:TGID_X_EN: 1
; COMPUTE_PGM_RSRC2:TGID_Y_EN: 0
; COMPUTE_PGM_RSRC2:TGID_Z_EN: 0
; COMPUTE_PGM_RSRC2:TIDIG_COMP_CNT: 0
; COMPUTE_PGM_RSRC3_GFX90A:ACCUM_OFFSET: 1
; COMPUTE_PGM_RSRC3_GFX90A:TG_SPLIT: 0
	.section	.text._Z6kernelI13subtract_leftLj256ELj3ELb1EJPdS1_jEEvDpT3_,"axG",@progbits,_Z6kernelI13subtract_leftLj256ELj3ELb1EJPdS1_jEEvDpT3_,comdat
	.protected	_Z6kernelI13subtract_leftLj256ELj3ELb1EJPdS1_jEEvDpT3_ ; -- Begin function _Z6kernelI13subtract_leftLj256ELj3ELb1EJPdS1_jEEvDpT3_
	.globl	_Z6kernelI13subtract_leftLj256ELj3ELb1EJPdS1_jEEvDpT3_
	.p2align	8
	.type	_Z6kernelI13subtract_leftLj256ELj3ELb1EJPdS1_jEEvDpT3_,@function
_Z6kernelI13subtract_leftLj256ELj3ELb1EJPdS1_jEEvDpT3_: ; @_Z6kernelI13subtract_leftLj256ELj3ELb1EJPdS1_jEEvDpT3_
; %bb.0:
	s_load_dwordx4 s[0:3], s[4:5], 0x0
	s_load_dword s7, s[4:5], 0x10
	s_mul_i32 s4, s6, 0x300
	s_mov_b32 s5, 0
	s_lshl_b64 s[4:5], s[4:5], 3
	s_waitcnt lgkmcnt(0)
	s_add_u32 s0, s0, s4
	s_addc_u32 s1, s1, s5
	v_lshlrev_b32_e32 v8, 3, v0
	v_mov_b32_e32 v1, s1
	v_add_co_u32_e32 v2, vcc, s0, v8
	v_addc_co_u32_e32 v1, vcc, 0, v1, vcc
	v_add_co_u32_e32 v10, vcc, 0x1000, v2
	v_addc_co_u32_e32 v11, vcc, 0, v1, vcc
	global_load_dwordx2 v[6:7], v8, s[0:1]
	global_load_dwordx2 v[4:5], v8, s[0:1] offset:2048
	global_load_dwordx2 v[2:3], v[10:11], off
	s_cmp_eq_u32 s7, 0
	s_cbranch_scc1 .LBB55_5
; %bb.1:
	v_cmp_ne_u32_e32 vcc, 0, v0
	v_add_u32_e32 v9, -8, v8
	s_branch .LBB55_3
.LBB55_2:                               ;   in Loop: Header=BB55_3 Depth=1
	s_or_b64 exec, exec, s[0:1]
	v_add_f64 v[10:11], v[2:3], -v[4:5]
	v_add_f64 v[12:13], v[4:5], -v[6:7]
	s_waitcnt lgkmcnt(0)
	v_add_f64 v[0:1], v[6:7], -v[0:1]
	s_add_i32 s7, s7, -1
	v_add_f64 v[6:7], v[6:7], v[0:1]
	v_add_f64 v[4:5], v[4:5], v[12:13]
	;; [unrolled: 1-line block ×3, first 2 shown]
	s_cmp_lg_u32 s7, 0
	s_barrier
	s_cbranch_scc0 .LBB55_5
.LBB55_3:                               ; =>This Inner Loop Header: Depth=1
	v_mov_b32_e32 v0, 0
	v_mov_b32_e32 v1, 0x405ec000
	s_waitcnt vmcnt(0)
	ds_write_b64 v8, v[2:3]
	s_waitcnt lgkmcnt(0)
	s_barrier
	s_and_saveexec_b64 s[0:1], vcc
	s_cbranch_execz .LBB55_2
; %bb.4:                                ;   in Loop: Header=BB55_3 Depth=1
	ds_read_b64 v[0:1], v9
	s_branch .LBB55_2
.LBB55_5:
	s_add_u32 s0, s2, s4
	s_addc_u32 s1, s3, s5
	v_mov_b32_e32 v0, s1
	v_add_co_u32_e32 v1, vcc, s0, v8
	v_addc_co_u32_e32 v9, vcc, 0, v0, vcc
	v_add_co_u32_e32 v0, vcc, 0x1000, v1
	v_addc_co_u32_e32 v1, vcc, 0, v9, vcc
	s_waitcnt vmcnt(2)
	global_store_dwordx2 v8, v[6:7], s[0:1]
	s_waitcnt vmcnt(2)
	global_store_dwordx2 v8, v[4:5], s[0:1] offset:2048
	s_waitcnt vmcnt(2)
	global_store_dwordx2 v[0:1], v[2:3], off
	s_endpgm
	.section	.rodata,"a",@progbits
	.p2align	6, 0x0
	.amdhsa_kernel _Z6kernelI13subtract_leftLj256ELj3ELb1EJPdS1_jEEvDpT3_
		.amdhsa_group_segment_fixed_size 4096
		.amdhsa_private_segment_fixed_size 0
		.amdhsa_kernarg_size 20
		.amdhsa_user_sgpr_count 6
		.amdhsa_user_sgpr_private_segment_buffer 1
		.amdhsa_user_sgpr_dispatch_ptr 0
		.amdhsa_user_sgpr_queue_ptr 0
		.amdhsa_user_sgpr_kernarg_segment_ptr 1
		.amdhsa_user_sgpr_dispatch_id 0
		.amdhsa_user_sgpr_flat_scratch_init 0
		.amdhsa_user_sgpr_kernarg_preload_length 0
		.amdhsa_user_sgpr_kernarg_preload_offset 0
		.amdhsa_user_sgpr_private_segment_size 0
		.amdhsa_uses_dynamic_stack 0
		.amdhsa_system_sgpr_private_segment_wavefront_offset 0
		.amdhsa_system_sgpr_workgroup_id_x 1
		.amdhsa_system_sgpr_workgroup_id_y 0
		.amdhsa_system_sgpr_workgroup_id_z 0
		.amdhsa_system_sgpr_workgroup_info 0
		.amdhsa_system_vgpr_workitem_id 0
		.amdhsa_next_free_vgpr 14
		.amdhsa_next_free_sgpr 8
		.amdhsa_accum_offset 16
		.amdhsa_reserve_vcc 1
		.amdhsa_reserve_flat_scratch 0
		.amdhsa_float_round_mode_32 0
		.amdhsa_float_round_mode_16_64 0
		.amdhsa_float_denorm_mode_32 3
		.amdhsa_float_denorm_mode_16_64 3
		.amdhsa_dx10_clamp 1
		.amdhsa_ieee_mode 1
		.amdhsa_fp16_overflow 0
		.amdhsa_tg_split 0
		.amdhsa_exception_fp_ieee_invalid_op 0
		.amdhsa_exception_fp_denorm_src 0
		.amdhsa_exception_fp_ieee_div_zero 0
		.amdhsa_exception_fp_ieee_overflow 0
		.amdhsa_exception_fp_ieee_underflow 0
		.amdhsa_exception_fp_ieee_inexact 0
		.amdhsa_exception_int_div_zero 0
	.end_amdhsa_kernel
	.section	.text._Z6kernelI13subtract_leftLj256ELj3ELb1EJPdS1_jEEvDpT3_,"axG",@progbits,_Z6kernelI13subtract_leftLj256ELj3ELb1EJPdS1_jEEvDpT3_,comdat
.Lfunc_end55:
	.size	_Z6kernelI13subtract_leftLj256ELj3ELb1EJPdS1_jEEvDpT3_, .Lfunc_end55-_Z6kernelI13subtract_leftLj256ELj3ELb1EJPdS1_jEEvDpT3_
                                        ; -- End function
	.section	.AMDGPU.csdata,"",@progbits
; Kernel info:
; codeLenInByte = 312
; NumSgprs: 12
; NumVgprs: 14
; NumAgprs: 0
; TotalNumVgprs: 14
; ScratchSize: 0
; MemoryBound: 0
; FloatMode: 240
; IeeeMode: 1
; LDSByteSize: 4096 bytes/workgroup (compile time only)
; SGPRBlocks: 1
; VGPRBlocks: 1
; NumSGPRsForWavesPerEU: 12
; NumVGPRsForWavesPerEU: 14
; AccumOffset: 16
; Occupancy: 8
; WaveLimiterHint : 1
; COMPUTE_PGM_RSRC2:SCRATCH_EN: 0
; COMPUTE_PGM_RSRC2:USER_SGPR: 6
; COMPUTE_PGM_RSRC2:TRAP_HANDLER: 0
; COMPUTE_PGM_RSRC2:TGID_X_EN: 1
; COMPUTE_PGM_RSRC2:TGID_Y_EN: 0
; COMPUTE_PGM_RSRC2:TGID_Z_EN: 0
; COMPUTE_PGM_RSRC2:TIDIG_COMP_CNT: 0
; COMPUTE_PGM_RSRC3_GFX90A:ACCUM_OFFSET: 3
; COMPUTE_PGM_RSRC3_GFX90A:TG_SPLIT: 0
	.section	.text._Z6kernelI13subtract_leftLj256ELj4ELb1EJPdS1_jEEvDpT3_,"axG",@progbits,_Z6kernelI13subtract_leftLj256ELj4ELb1EJPdS1_jEEvDpT3_,comdat
	.protected	_Z6kernelI13subtract_leftLj256ELj4ELb1EJPdS1_jEEvDpT3_ ; -- Begin function _Z6kernelI13subtract_leftLj256ELj4ELb1EJPdS1_jEEvDpT3_
	.globl	_Z6kernelI13subtract_leftLj256ELj4ELb1EJPdS1_jEEvDpT3_
	.p2align	8
	.type	_Z6kernelI13subtract_leftLj256ELj4ELb1EJPdS1_jEEvDpT3_,@function
_Z6kernelI13subtract_leftLj256ELj4ELb1EJPdS1_jEEvDpT3_: ; @_Z6kernelI13subtract_leftLj256ELj4ELb1EJPdS1_jEEvDpT3_
; %bb.0:
	s_load_dwordx4 s[0:3], s[4:5], 0x0
	s_load_dword s7, s[4:5], 0x10
	s_lshl_b32 s4, s6, 10
	s_mov_b32 s5, 0
	s_lshl_b64 s[4:5], s[4:5], 3
	s_waitcnt lgkmcnt(0)
	s_add_u32 s0, s0, s4
	s_addc_u32 s1, s1, s5
	v_lshlrev_b32_e32 v10, 3, v0
	v_mov_b32_e32 v1, s1
	v_add_co_u32_e32 v2, vcc, s0, v10
	v_addc_co_u32_e32 v1, vcc, 0, v1, vcc
	v_add_co_u32_e32 v12, vcc, 0x1000, v2
	v_addc_co_u32_e32 v13, vcc, 0, v1, vcc
	global_load_dwordx2 v[8:9], v10, s[0:1]
	global_load_dwordx2 v[6:7], v10, s[0:1] offset:2048
	global_load_dwordx2 v[4:5], v[12:13], off
	global_load_dwordx2 v[2:3], v[12:13], off offset:2048
	s_cmp_eq_u32 s7, 0
	s_cbranch_scc1 .LBB56_5
; %bb.1:
	v_cmp_ne_u32_e32 vcc, 0, v0
	v_add_u32_e32 v11, -8, v10
	s_branch .LBB56_3
.LBB56_2:                               ;   in Loop: Header=BB56_3 Depth=1
	s_or_b64 exec, exec, s[0:1]
	v_add_f64 v[12:13], v[2:3], -v[4:5]
	v_add_f64 v[14:15], v[4:5], -v[6:7]
	;; [unrolled: 1-line block ×3, first 2 shown]
	s_waitcnt lgkmcnt(0)
	v_add_f64 v[0:1], v[8:9], -v[0:1]
	s_add_i32 s7, s7, -1
	v_add_f64 v[8:9], v[8:9], v[0:1]
	v_add_f64 v[6:7], v[6:7], v[16:17]
	;; [unrolled: 1-line block ×4, first 2 shown]
	s_cmp_lg_u32 s7, 0
	s_barrier
	s_cbranch_scc0 .LBB56_5
.LBB56_3:                               ; =>This Inner Loop Header: Depth=1
	v_mov_b32_e32 v0, 0
	v_mov_b32_e32 v1, 0x405ec000
	s_waitcnt vmcnt(0)
	ds_write_b64 v10, v[2:3]
	s_waitcnt lgkmcnt(0)
	s_barrier
	s_and_saveexec_b64 s[0:1], vcc
	s_cbranch_execz .LBB56_2
; %bb.4:                                ;   in Loop: Header=BB56_3 Depth=1
	ds_read_b64 v[0:1], v11
	s_branch .LBB56_2
.LBB56_5:
	s_add_u32 s0, s2, s4
	s_addc_u32 s1, s3, s5
	v_mov_b32_e32 v0, s1
	v_add_co_u32_e32 v1, vcc, s0, v10
	v_addc_co_u32_e32 v11, vcc, 0, v0, vcc
	v_add_co_u32_e32 v0, vcc, 0x1000, v1
	v_addc_co_u32_e32 v1, vcc, 0, v11, vcc
	s_waitcnt vmcnt(3)
	global_store_dwordx2 v10, v[8:9], s[0:1]
	s_waitcnt vmcnt(3)
	global_store_dwordx2 v10, v[6:7], s[0:1] offset:2048
	s_waitcnt vmcnt(3)
	global_store_dwordx2 v[0:1], v[4:5], off
	s_waitcnt vmcnt(3)
	global_store_dwordx2 v[0:1], v[2:3], off offset:2048
	s_endpgm
	.section	.rodata,"a",@progbits
	.p2align	6, 0x0
	.amdhsa_kernel _Z6kernelI13subtract_leftLj256ELj4ELb1EJPdS1_jEEvDpT3_
		.amdhsa_group_segment_fixed_size 4096
		.amdhsa_private_segment_fixed_size 0
		.amdhsa_kernarg_size 20
		.amdhsa_user_sgpr_count 6
		.amdhsa_user_sgpr_private_segment_buffer 1
		.amdhsa_user_sgpr_dispatch_ptr 0
		.amdhsa_user_sgpr_queue_ptr 0
		.amdhsa_user_sgpr_kernarg_segment_ptr 1
		.amdhsa_user_sgpr_dispatch_id 0
		.amdhsa_user_sgpr_flat_scratch_init 0
		.amdhsa_user_sgpr_kernarg_preload_length 0
		.amdhsa_user_sgpr_kernarg_preload_offset 0
		.amdhsa_user_sgpr_private_segment_size 0
		.amdhsa_uses_dynamic_stack 0
		.amdhsa_system_sgpr_private_segment_wavefront_offset 0
		.amdhsa_system_sgpr_workgroup_id_x 1
		.amdhsa_system_sgpr_workgroup_id_y 0
		.amdhsa_system_sgpr_workgroup_id_z 0
		.amdhsa_system_sgpr_workgroup_info 0
		.amdhsa_system_vgpr_workitem_id 0
		.amdhsa_next_free_vgpr 18
		.amdhsa_next_free_sgpr 8
		.amdhsa_accum_offset 20
		.amdhsa_reserve_vcc 1
		.amdhsa_reserve_flat_scratch 0
		.amdhsa_float_round_mode_32 0
		.amdhsa_float_round_mode_16_64 0
		.amdhsa_float_denorm_mode_32 3
		.amdhsa_float_denorm_mode_16_64 3
		.amdhsa_dx10_clamp 1
		.amdhsa_ieee_mode 1
		.amdhsa_fp16_overflow 0
		.amdhsa_tg_split 0
		.amdhsa_exception_fp_ieee_invalid_op 0
		.amdhsa_exception_fp_denorm_src 0
		.amdhsa_exception_fp_ieee_div_zero 0
		.amdhsa_exception_fp_ieee_overflow 0
		.amdhsa_exception_fp_ieee_underflow 0
		.amdhsa_exception_fp_ieee_inexact 0
		.amdhsa_exception_int_div_zero 0
	.end_amdhsa_kernel
	.section	.text._Z6kernelI13subtract_leftLj256ELj4ELb1EJPdS1_jEEvDpT3_,"axG",@progbits,_Z6kernelI13subtract_leftLj256ELj4ELb1EJPdS1_jEEvDpT3_,comdat
.Lfunc_end56:
	.size	_Z6kernelI13subtract_leftLj256ELj4ELb1EJPdS1_jEEvDpT3_, .Lfunc_end56-_Z6kernelI13subtract_leftLj256ELj4ELb1EJPdS1_jEEvDpT3_
                                        ; -- End function
	.section	.AMDGPU.csdata,"",@progbits
; Kernel info:
; codeLenInByte = 344
; NumSgprs: 12
; NumVgprs: 18
; NumAgprs: 0
; TotalNumVgprs: 18
; ScratchSize: 0
; MemoryBound: 0
; FloatMode: 240
; IeeeMode: 1
; LDSByteSize: 4096 bytes/workgroup (compile time only)
; SGPRBlocks: 1
; VGPRBlocks: 2
; NumSGPRsForWavesPerEU: 12
; NumVGPRsForWavesPerEU: 18
; AccumOffset: 20
; Occupancy: 8
; WaveLimiterHint : 1
; COMPUTE_PGM_RSRC2:SCRATCH_EN: 0
; COMPUTE_PGM_RSRC2:USER_SGPR: 6
; COMPUTE_PGM_RSRC2:TRAP_HANDLER: 0
; COMPUTE_PGM_RSRC2:TGID_X_EN: 1
; COMPUTE_PGM_RSRC2:TGID_Y_EN: 0
; COMPUTE_PGM_RSRC2:TGID_Z_EN: 0
; COMPUTE_PGM_RSRC2:TIDIG_COMP_CNT: 0
; COMPUTE_PGM_RSRC3_GFX90A:ACCUM_OFFSET: 4
; COMPUTE_PGM_RSRC3_GFX90A:TG_SPLIT: 0
	.section	.text._Z6kernelI13subtract_leftLj256ELj8ELb1EJPdS1_jEEvDpT3_,"axG",@progbits,_Z6kernelI13subtract_leftLj256ELj8ELb1EJPdS1_jEEvDpT3_,comdat
	.protected	_Z6kernelI13subtract_leftLj256ELj8ELb1EJPdS1_jEEvDpT3_ ; -- Begin function _Z6kernelI13subtract_leftLj256ELj8ELb1EJPdS1_jEEvDpT3_
	.globl	_Z6kernelI13subtract_leftLj256ELj8ELb1EJPdS1_jEEvDpT3_
	.p2align	8
	.type	_Z6kernelI13subtract_leftLj256ELj8ELb1EJPdS1_jEEvDpT3_,@function
_Z6kernelI13subtract_leftLj256ELj8ELb1EJPdS1_jEEvDpT3_: ; @_Z6kernelI13subtract_leftLj256ELj8ELb1EJPdS1_jEEvDpT3_
; %bb.0:
	s_load_dwordx4 s[0:3], s[4:5], 0x0
	s_load_dword s7, s[4:5], 0x10
	s_lshl_b32 s4, s6, 11
	s_mov_b32 s5, 0
	s_lshl_b64 s[4:5], s[4:5], 3
	s_waitcnt lgkmcnt(0)
	s_add_u32 s0, s0, s4
	s_addc_u32 s1, s1, s5
	v_lshlrev_b32_e32 v18, 3, v0
	v_mov_b32_e32 v1, s1
	v_add_co_u32_e32 v12, vcc, s0, v18
	v_addc_co_u32_e32 v1, vcc, 0, v1, vcc
	s_movk_i32 s6, 0x1000
	v_add_co_u32_e32 v10, vcc, s6, v12
	v_addc_co_u32_e32 v11, vcc, 0, v1, vcc
	v_add_co_u32_e32 v20, vcc, 0x2000, v12
	v_addc_co_u32_e32 v21, vcc, 0, v1, vcc
	v_add_co_u32_e32 v22, vcc, 0x3000, v12
	global_load_dwordx2 v[8:9], v18, s[0:1]
	global_load_dwordx2 v[6:7], v18, s[0:1] offset:2048
	global_load_dwordx2 v[4:5], v[10:11], off
	global_load_dwordx2 v[2:3], v[10:11], off offset:2048
	v_addc_co_u32_e32 v23, vcc, 0, v1, vcc
	global_load_dwordx2 v[16:17], v[20:21], off
	global_load_dwordx2 v[14:15], v[20:21], off offset:2048
	global_load_dwordx2 v[12:13], v[22:23], off
	global_load_dwordx2 v[10:11], v[22:23], off offset:2048
	s_cmp_eq_u32 s7, 0
	s_cbranch_scc1 .LBB57_5
; %bb.1:
	v_cmp_ne_u32_e32 vcc, 0, v0
	v_add_u32_e32 v19, -8, v18
	s_branch .LBB57_3
.LBB57_2:                               ;   in Loop: Header=BB57_3 Depth=1
	s_or_b64 exec, exec, s[0:1]
	v_add_f64 v[20:21], v[10:11], -v[12:13]
	v_add_f64 v[22:23], v[12:13], -v[14:15]
	;; [unrolled: 1-line block ×7, first 2 shown]
	s_waitcnt lgkmcnt(0)
	v_add_f64 v[0:1], v[8:9], -v[0:1]
	s_add_i32 s7, s7, -1
	v_add_f64 v[8:9], v[8:9], v[0:1]
	v_add_f64 v[6:7], v[6:7], v[32:33]
	;; [unrolled: 1-line block ×8, first 2 shown]
	s_cmp_lg_u32 s7, 0
	s_barrier
	s_cbranch_scc0 .LBB57_5
.LBB57_3:                               ; =>This Inner Loop Header: Depth=1
	v_mov_b32_e32 v0, 0
	v_mov_b32_e32 v1, 0x405ec000
	s_waitcnt vmcnt(0)
	ds_write_b64 v18, v[10:11]
	s_waitcnt lgkmcnt(0)
	s_barrier
	s_and_saveexec_b64 s[0:1], vcc
	s_cbranch_execz .LBB57_2
; %bb.4:                                ;   in Loop: Header=BB57_3 Depth=1
	ds_read_b64 v[0:1], v19
	s_branch .LBB57_2
.LBB57_5:
	s_add_u32 s0, s2, s4
	s_addc_u32 s1, s3, s5
	v_mov_b32_e32 v0, s1
	v_add_co_u32_e32 v19, vcc, s0, v18
	v_addc_co_u32_e32 v20, vcc, 0, v0, vcc
	v_add_co_u32_e32 v0, vcc, 0x1000, v19
	v_addc_co_u32_e32 v1, vcc, 0, v20, vcc
	s_waitcnt vmcnt(7)
	global_store_dwordx2 v18, v[8:9], s[0:1]
	s_waitcnt vmcnt(7)
	global_store_dwordx2 v18, v[6:7], s[0:1] offset:2048
	s_waitcnt vmcnt(7)
	global_store_dwordx2 v[0:1], v[4:5], off
	s_waitcnt vmcnt(7)
	global_store_dwordx2 v[0:1], v[2:3], off offset:2048
	v_add_co_u32_e32 v0, vcc, 0x2000, v19
	v_addc_co_u32_e32 v1, vcc, 0, v20, vcc
	s_waitcnt vmcnt(7)
	global_store_dwordx2 v[0:1], v[16:17], off
	s_waitcnt vmcnt(7)
	global_store_dwordx2 v[0:1], v[14:15], off offset:2048
	v_add_co_u32_e32 v0, vcc, 0x3000, v19
	v_addc_co_u32_e32 v1, vcc, 0, v20, vcc
	s_waitcnt vmcnt(7)
	global_store_dwordx2 v[0:1], v[12:13], off
	s_waitcnt vmcnt(7)
	global_store_dwordx2 v[0:1], v[10:11], off offset:2048
	s_endpgm
	.section	.rodata,"a",@progbits
	.p2align	6, 0x0
	.amdhsa_kernel _Z6kernelI13subtract_leftLj256ELj8ELb1EJPdS1_jEEvDpT3_
		.amdhsa_group_segment_fixed_size 4096
		.amdhsa_private_segment_fixed_size 0
		.amdhsa_kernarg_size 20
		.amdhsa_user_sgpr_count 6
		.amdhsa_user_sgpr_private_segment_buffer 1
		.amdhsa_user_sgpr_dispatch_ptr 0
		.amdhsa_user_sgpr_queue_ptr 0
		.amdhsa_user_sgpr_kernarg_segment_ptr 1
		.amdhsa_user_sgpr_dispatch_id 0
		.amdhsa_user_sgpr_flat_scratch_init 0
		.amdhsa_user_sgpr_kernarg_preload_length 0
		.amdhsa_user_sgpr_kernarg_preload_offset 0
		.amdhsa_user_sgpr_private_segment_size 0
		.amdhsa_uses_dynamic_stack 0
		.amdhsa_system_sgpr_private_segment_wavefront_offset 0
		.amdhsa_system_sgpr_workgroup_id_x 1
		.amdhsa_system_sgpr_workgroup_id_y 0
		.amdhsa_system_sgpr_workgroup_id_z 0
		.amdhsa_system_sgpr_workgroup_info 0
		.amdhsa_system_vgpr_workitem_id 0
		.amdhsa_next_free_vgpr 34
		.amdhsa_next_free_sgpr 8
		.amdhsa_accum_offset 36
		.amdhsa_reserve_vcc 1
		.amdhsa_reserve_flat_scratch 0
		.amdhsa_float_round_mode_32 0
		.amdhsa_float_round_mode_16_64 0
		.amdhsa_float_denorm_mode_32 3
		.amdhsa_float_denorm_mode_16_64 3
		.amdhsa_dx10_clamp 1
		.amdhsa_ieee_mode 1
		.amdhsa_fp16_overflow 0
		.amdhsa_tg_split 0
		.amdhsa_exception_fp_ieee_invalid_op 0
		.amdhsa_exception_fp_denorm_src 0
		.amdhsa_exception_fp_ieee_div_zero 0
		.amdhsa_exception_fp_ieee_overflow 0
		.amdhsa_exception_fp_ieee_underflow 0
		.amdhsa_exception_fp_ieee_inexact 0
		.amdhsa_exception_int_div_zero 0
	.end_amdhsa_kernel
	.section	.text._Z6kernelI13subtract_leftLj256ELj8ELb1EJPdS1_jEEvDpT3_,"axG",@progbits,_Z6kernelI13subtract_leftLj256ELj8ELb1EJPdS1_jEEvDpT3_,comdat
.Lfunc_end57:
	.size	_Z6kernelI13subtract_leftLj256ELj8ELb1EJPdS1_jEEvDpT3_, .Lfunc_end57-_Z6kernelI13subtract_leftLj256ELj8ELb1EJPdS1_jEEvDpT3_
                                        ; -- End function
	.section	.AMDGPU.csdata,"",@progbits
; Kernel info:
; codeLenInByte = 536
; NumSgprs: 12
; NumVgprs: 34
; NumAgprs: 0
; TotalNumVgprs: 34
; ScratchSize: 0
; MemoryBound: 0
; FloatMode: 240
; IeeeMode: 1
; LDSByteSize: 4096 bytes/workgroup (compile time only)
; SGPRBlocks: 1
; VGPRBlocks: 4
; NumSGPRsForWavesPerEU: 12
; NumVGPRsForWavesPerEU: 34
; AccumOffset: 36
; Occupancy: 8
; WaveLimiterHint : 1
; COMPUTE_PGM_RSRC2:SCRATCH_EN: 0
; COMPUTE_PGM_RSRC2:USER_SGPR: 6
; COMPUTE_PGM_RSRC2:TRAP_HANDLER: 0
; COMPUTE_PGM_RSRC2:TGID_X_EN: 1
; COMPUTE_PGM_RSRC2:TGID_Y_EN: 0
; COMPUTE_PGM_RSRC2:TGID_Z_EN: 0
; COMPUTE_PGM_RSRC2:TIDIG_COMP_CNT: 0
; COMPUTE_PGM_RSRC3_GFX90A:ACCUM_OFFSET: 8
; COMPUTE_PGM_RSRC3_GFX90A:TG_SPLIT: 0
	.section	.text._Z6kernelI13subtract_leftLj256ELj16ELb1EJPdS1_jEEvDpT3_,"axG",@progbits,_Z6kernelI13subtract_leftLj256ELj16ELb1EJPdS1_jEEvDpT3_,comdat
	.protected	_Z6kernelI13subtract_leftLj256ELj16ELb1EJPdS1_jEEvDpT3_ ; -- Begin function _Z6kernelI13subtract_leftLj256ELj16ELb1EJPdS1_jEEvDpT3_
	.globl	_Z6kernelI13subtract_leftLj256ELj16ELb1EJPdS1_jEEvDpT3_
	.p2align	8
	.type	_Z6kernelI13subtract_leftLj256ELj16ELb1EJPdS1_jEEvDpT3_,@function
_Z6kernelI13subtract_leftLj256ELj16ELb1EJPdS1_jEEvDpT3_: ; @_Z6kernelI13subtract_leftLj256ELj16ELb1EJPdS1_jEEvDpT3_
; %bb.0:
	s_load_dwordx4 s[0:3], s[4:5], 0x0
	s_load_dword s7, s[4:5], 0x10
	s_lshl_b32 s4, s6, 12
	s_mov_b32 s5, 0
	s_lshl_b64 s[4:5], s[4:5], 3
	s_waitcnt lgkmcnt(0)
	s_add_u32 s0, s0, s4
	s_addc_u32 s1, s1, s5
	v_lshlrev_b32_e32 v34, 3, v0
	v_mov_b32_e32 v1, s1
	v_add_co_u32_e32 v32, vcc, s0, v34
	v_addc_co_u32_e32 v1, vcc, 0, v1, vcc
	s_movk_i32 s6, 0x1000
	v_add_co_u32_e32 v12, vcc, s6, v32
	v_addc_co_u32_e32 v13, vcc, 0, v1, vcc
	s_movk_i32 s6, 0x2000
	;; [unrolled: 3-line block ×4, first 2 shown]
	v_add_co_u32_e32 v16, vcc, s6, v32
	global_load_dwordx2 v[2:3], v[36:37], off
	v_addc_co_u32_e32 v17, vcc, 0, v1, vcc
	global_load_dwordx2 v[30:31], v34, s[0:1]
	global_load_dwordx2 v[28:29], v34, s[0:1] offset:2048
	global_load_dwordx2 v[26:27], v[12:13], off offset:2048
	global_load_dwordx2 v[8:9], v[14:15], off offset:2048
	;; [unrolled: 1-line block ×3, first 2 shown]
	global_load_dwordx2 v[10:11], v[16:17], off offset:-4096
	global_load_dwordx2 v[6:7], v[16:17], off
	global_load_dwordx2 v[4:5], v[16:17], off offset:2048
	s_movk_i32 s0, 0x5000
	v_add_co_u32_e32 v16, vcc, s0, v32
	v_addc_co_u32_e32 v17, vcc, 0, v1, vcc
	v_add_co_u32_e32 v18, vcc, 0x6000, v32
	v_addc_co_u32_e32 v19, vcc, 0, v1, vcc
	v_add_co_u32_e32 v38, vcc, 0x7000, v32
	global_load_dwordx2 v[22:23], v[16:17], off
	global_load_dwordx2 v[20:21], v[16:17], off offset:2048
	global_load_dwordx2 v[14:15], v[18:19], off
	global_load_dwordx2 v[12:13], v[18:19], off offset:2048
	v_addc_co_u32_e32 v39, vcc, 0, v1, vcc
	global_load_dwordx2 v[16:17], v[38:39], off
	global_load_dwordx2 v[32:33], v[36:37], off offset:-4096
	global_load_dwordx2 v[18:19], v[38:39], off offset:2048
	s_cmp_eq_u32 s7, 0
	s_cbranch_scc1 .LBB58_5
; %bb.1:
	v_cmp_ne_u32_e32 vcc, 0, v0
	v_add_u32_e32 v35, -8, v34
	s_branch .LBB58_3
.LBB58_2:                               ;   in Loop: Header=BB58_3 Depth=1
	s_or_b64 exec, exec, s[0:1]
	v_add_f64 v[60:61], v[28:29], -v[30:31]
	s_waitcnt lgkmcnt(0)
	v_add_f64 v[0:1], v[30:31], -v[0:1]
	v_add_f64 v[36:37], v[18:19], -v[16:17]
	v_add_f64 v[38:39], v[16:17], -v[12:13]
	v_add_f64 v[40:41], v[12:13], -v[14:15]
	v_add_f64 v[42:43], v[14:15], -v[20:21]
	v_add_f64 v[44:45], v[20:21], -v[22:23]
	v_add_f64 v[46:47], v[22:23], -v[4:5]
	v_add_f64 v[48:49], v[4:5], -v[6:7]
	v_add_f64 v[50:51], v[6:7], -v[8:9]
	v_add_f64 v[52:53], v[8:9], -v[10:11]
	v_add_f64 v[54:55], v[10:11], -v[24:25]
	v_add_f64 v[56:57], v[24:25], -v[2:3]
	v_add_f64 v[58:59], v[2:3], -v[26:27]
	v_add_f64 v[30:31], v[30:31], v[0:1]
	v_add_f64 v[0:1], v[32:33], -v[28:29]
	v_add_f64 v[28:29], v[28:29], v[60:61]
	v_add_f64 v[60:61], v[26:27], -v[32:33]
	s_add_i32 s7, s7, -1
	v_add_f64 v[32:33], v[32:33], v[0:1]
	v_add_f64 v[26:27], v[26:27], v[60:61]
	;; [unrolled: 1-line block ×14, first 2 shown]
	s_cmp_lg_u32 s7, 0
	s_barrier
	s_cbranch_scc0 .LBB58_5
.LBB58_3:                               ; =>This Inner Loop Header: Depth=1
	v_mov_b32_e32 v0, 0
	v_mov_b32_e32 v1, 0x405ec000
	s_waitcnt vmcnt(0)
	ds_write_b64 v34, v[18:19]
	s_waitcnt lgkmcnt(0)
	s_barrier
	s_and_saveexec_b64 s[0:1], vcc
	s_cbranch_execz .LBB58_2
; %bb.4:                                ;   in Loop: Header=BB58_3 Depth=1
	ds_read_b64 v[0:1], v35
	s_branch .LBB58_2
.LBB58_5:
	s_add_u32 s0, s2, s4
	s_addc_u32 s1, s3, s5
	v_mov_b32_e32 v0, s1
	v_add_co_u32_e32 v35, vcc, s0, v34
	v_addc_co_u32_e32 v36, vcc, 0, v0, vcc
	v_add_co_u32_e32 v0, vcc, 0x1000, v35
	v_addc_co_u32_e32 v1, vcc, 0, v36, vcc
	s_waitcnt vmcnt(14)
	global_store_dwordx2 v34, v[30:31], s[0:1]
	s_waitcnt vmcnt(14)
	global_store_dwordx2 v34, v[28:29], s[0:1] offset:2048
	s_waitcnt vmcnt(3)
	global_store_dwordx2 v[0:1], v[32:33], off
	global_store_dwordx2 v[0:1], v[26:27], off offset:2048
	v_add_co_u32_e32 v0, vcc, 0x2000, v35
	v_addc_co_u32_e32 v1, vcc, 0, v36, vcc
	global_store_dwordx2 v[0:1], v[2:3], off
	global_store_dwordx2 v[0:1], v[24:25], off offset:2048
	v_add_co_u32_e32 v0, vcc, 0x3000, v35
	v_addc_co_u32_e32 v1, vcc, 0, v36, vcc
	;; [unrolled: 4-line block ×6, first 2 shown]
	global_store_dwordx2 v[0:1], v[16:17], off
	s_waitcnt vmcnt(15)
	global_store_dwordx2 v[0:1], v[18:19], off offset:2048
	s_endpgm
	.section	.rodata,"a",@progbits
	.p2align	6, 0x0
	.amdhsa_kernel _Z6kernelI13subtract_leftLj256ELj16ELb1EJPdS1_jEEvDpT3_
		.amdhsa_group_segment_fixed_size 4096
		.amdhsa_private_segment_fixed_size 0
		.amdhsa_kernarg_size 20
		.amdhsa_user_sgpr_count 6
		.amdhsa_user_sgpr_private_segment_buffer 1
		.amdhsa_user_sgpr_dispatch_ptr 0
		.amdhsa_user_sgpr_queue_ptr 0
		.amdhsa_user_sgpr_kernarg_segment_ptr 1
		.amdhsa_user_sgpr_dispatch_id 0
		.amdhsa_user_sgpr_flat_scratch_init 0
		.amdhsa_user_sgpr_kernarg_preload_length 0
		.amdhsa_user_sgpr_kernarg_preload_offset 0
		.amdhsa_user_sgpr_private_segment_size 0
		.amdhsa_uses_dynamic_stack 0
		.amdhsa_system_sgpr_private_segment_wavefront_offset 0
		.amdhsa_system_sgpr_workgroup_id_x 1
		.amdhsa_system_sgpr_workgroup_id_y 0
		.amdhsa_system_sgpr_workgroup_id_z 0
		.amdhsa_system_sgpr_workgroup_info 0
		.amdhsa_system_vgpr_workitem_id 0
		.amdhsa_next_free_vgpr 62
		.amdhsa_next_free_sgpr 8
		.amdhsa_accum_offset 64
		.amdhsa_reserve_vcc 1
		.amdhsa_reserve_flat_scratch 0
		.amdhsa_float_round_mode_32 0
		.amdhsa_float_round_mode_16_64 0
		.amdhsa_float_denorm_mode_32 3
		.amdhsa_float_denorm_mode_16_64 3
		.amdhsa_dx10_clamp 1
		.amdhsa_ieee_mode 1
		.amdhsa_fp16_overflow 0
		.amdhsa_tg_split 0
		.amdhsa_exception_fp_ieee_invalid_op 0
		.amdhsa_exception_fp_denorm_src 0
		.amdhsa_exception_fp_ieee_div_zero 0
		.amdhsa_exception_fp_ieee_overflow 0
		.amdhsa_exception_fp_ieee_underflow 0
		.amdhsa_exception_fp_ieee_inexact 0
		.amdhsa_exception_int_div_zero 0
	.end_amdhsa_kernel
	.section	.text._Z6kernelI13subtract_leftLj256ELj16ELb1EJPdS1_jEEvDpT3_,"axG",@progbits,_Z6kernelI13subtract_leftLj256ELj16ELb1EJPdS1_jEEvDpT3_,comdat
.Lfunc_end58:
	.size	_Z6kernelI13subtract_leftLj256ELj16ELb1EJPdS1_jEEvDpT3_, .Lfunc_end58-_Z6kernelI13subtract_leftLj256ELj16ELb1EJPdS1_jEEvDpT3_
                                        ; -- End function
	.section	.AMDGPU.csdata,"",@progbits
; Kernel info:
; codeLenInByte = 872
; NumSgprs: 12
; NumVgprs: 62
; NumAgprs: 0
; TotalNumVgprs: 62
; ScratchSize: 0
; MemoryBound: 0
; FloatMode: 240
; IeeeMode: 1
; LDSByteSize: 4096 bytes/workgroup (compile time only)
; SGPRBlocks: 1
; VGPRBlocks: 7
; NumSGPRsForWavesPerEU: 12
; NumVGPRsForWavesPerEU: 62
; AccumOffset: 64
; Occupancy: 8
; WaveLimiterHint : 1
; COMPUTE_PGM_RSRC2:SCRATCH_EN: 0
; COMPUTE_PGM_RSRC2:USER_SGPR: 6
; COMPUTE_PGM_RSRC2:TRAP_HANDLER: 0
; COMPUTE_PGM_RSRC2:TGID_X_EN: 1
; COMPUTE_PGM_RSRC2:TGID_Y_EN: 0
; COMPUTE_PGM_RSRC2:TGID_Z_EN: 0
; COMPUTE_PGM_RSRC2:TIDIG_COMP_CNT: 0
; COMPUTE_PGM_RSRC3_GFX90A:ACCUM_OFFSET: 15
; COMPUTE_PGM_RSRC3_GFX90A:TG_SPLIT: 0
	.section	.text._Z6kernelI13subtract_leftLj256ELj32ELb1EJPdS1_jEEvDpT3_,"axG",@progbits,_Z6kernelI13subtract_leftLj256ELj32ELb1EJPdS1_jEEvDpT3_,comdat
	.protected	_Z6kernelI13subtract_leftLj256ELj32ELb1EJPdS1_jEEvDpT3_ ; -- Begin function _Z6kernelI13subtract_leftLj256ELj32ELb1EJPdS1_jEEvDpT3_
	.globl	_Z6kernelI13subtract_leftLj256ELj32ELb1EJPdS1_jEEvDpT3_
	.p2align	8
	.type	_Z6kernelI13subtract_leftLj256ELj32ELb1EJPdS1_jEEvDpT3_,@function
_Z6kernelI13subtract_leftLj256ELj32ELb1EJPdS1_jEEvDpT3_: ; @_Z6kernelI13subtract_leftLj256ELj32ELb1EJPdS1_jEEvDpT3_
; %bb.0:
	s_load_dwordx4 s[0:3], s[4:5], 0x0
	s_load_dword s7, s[4:5], 0x10
	s_lshl_b32 s4, s6, 13
	s_mov_b32 s5, 0
	s_lshl_b64 s[4:5], s[4:5], 3
	s_waitcnt lgkmcnt(0)
	s_add_u32 s0, s0, s4
	s_addc_u32 s1, s1, s5
	v_lshlrev_b32_e32 v66, 3, v0
	v_mov_b32_e32 v1, s1
	v_add_co_u32_e32 v52, vcc, s0, v66
	v_addc_co_u32_e32 v1, vcc, 0, v1, vcc
	s_movk_i32 s6, 0x1000
	v_add_co_u32_e32 v68, vcc, s6, v52
	v_addc_co_u32_e32 v69, vcc, 0, v1, vcc
	s_movk_i32 s6, 0x2000
	;; [unrolled: 3-line block ×6, first 2 shown]
	global_load_dwordx2 v[6:7], v[8:9], off offset:2048
	global_load_dwordx2 v[4:5], v[72:73], off
	global_load_dwordx2 v[2:3], v[72:73], off offset:2048
	v_add_co_u32_e32 v8, vcc, s6, v52
	v_addc_co_u32_e32 v9, vcc, 0, v1, vcc
	s_movk_i32 s6, 0x7000
	v_add_co_u32_e32 v38, vcc, s6, v52
	v_addc_co_u32_e32 v39, vcc, 0, v1, vcc
	s_mov_b32 s6, 0x8000
	v_add_co_u32_e32 v18, vcc, s6, v52
	v_addc_co_u32_e32 v19, vcc, 0, v1, vcc
	s_mov_b32 s6, 0x9000
	;; [unrolled: 3-line block ×6, first 2 shown]
	v_add_co_u32_e32 v74, vcc, s6, v52
	v_addc_co_u32_e32 v75, vcc, 0, v1, vcc
	v_add_co_u32_e32 v76, vcc, 0xe000, v52
	v_addc_co_u32_e32 v77, vcc, 0, v1, vcc
	v_add_co_u32_e32 v78, vcc, 0xf000, v52
	global_load_dwordx2 v[28:29], v[8:9], off offset:-4096
	global_load_dwordx2 v[16:17], v[8:9], off
	global_load_dwordx2 v[14:15], v[8:9], off offset:2048
	global_load_dwordx2 v[10:11], v[18:19], off offset:-4096
	global_load_dwordx2 v[24:25], v[18:19], off
	global_load_dwordx2 v[22:23], v[18:19], off offset:2048
	global_load_dwordx2 v[12:13], v[42:43], off offset:-4096
	s_nop 0
	global_load_dwordx2 v[8:9], v[42:43], off
	global_load_dwordx2 v[50:51], v[36:37], off offset:2048
	global_load_dwordx2 v[48:49], v[38:39], off offset:2048
	;; [unrolled: 1-line block ×5, first 2 shown]
	global_load_dwordx2 v[30:31], v[46:47], off offset:-4096
	global_load_dwordx2 v[20:21], v[46:47], off
	global_load_dwordx2 v[18:19], v[46:47], off offset:2048
	v_addc_co_u32_e32 v79, vcc, 0, v1, vcc
	global_load_dwordx2 v[46:47], v[74:75], off
	global_load_dwordx2 v[44:45], v[74:75], off offset:2048
	global_load_dwordx2 v[38:39], v[76:77], off
	global_load_dwordx2 v[36:37], v[76:77], off offset:2048
	global_load_dwordx2 v[52:53], v[72:73], off offset:-4096
	global_load_dwordx2 v[54:55], v[70:71], off offset:2048
	global_load_dwordx2 v[40:41], v[78:79], off
	global_load_dwordx2 v[56:57], v[70:71], off
	global_load_dwordx2 v[58:59], v[70:71], off offset:-4096
	global_load_dwordx2 v[42:43], v[78:79], off offset:2048
	global_load_dwordx2 v[62:63], v66, s[0:1]
	global_load_dwordx2 v[60:61], v[68:69], off offset:2048
	global_load_dwordx2 v[64:65], v66, s[0:1] offset:2048
	s_cmp_eq_u32 s7, 0
	s_cbranch_scc1 .LBB59_5
; %bb.1:
	v_cmp_ne_u32_e32 vcc, 0, v0
	v_add_u32_e32 v67, -8, v66
	s_branch .LBB59_3
.LBB59_2:                               ;   in Loop: Header=BB59_3 Depth=1
	s_or_b64 exec, exec, s[0:1]
	s_waitcnt vmcnt(0)
	v_add_f64 v[68:69], v[64:65], -v[62:63]
	s_waitcnt lgkmcnt(0)
	v_add_f64 v[0:1], v[62:63], -v[0:1]
	v_add_f64 v[62:63], v[62:63], v[0:1]
	v_add_f64 v[0:1], v[58:59], -v[64:65]
	v_add_f64 v[64:65], v[64:65], v[68:69]
	v_add_f64 v[68:69], v[60:61], -v[58:59]
	v_add_f64 v[58:59], v[58:59], v[0:1]
	v_add_f64 v[0:1], v[56:57], -v[60:61]
	v_add_f64 v[60:61], v[60:61], v[68:69]
	v_add_f64 v[68:69], v[54:55], -v[56:57]
	v_add_f64 v[56:57], v[56:57], v[0:1]
	v_add_f64 v[0:1], v[52:53], -v[54:55]
	v_add_f64 v[54:55], v[54:55], v[68:69]
	v_add_f64 v[68:69], v[6:7], -v[52:53]
	v_add_f64 v[52:53], v[52:53], v[0:1]
	v_add_f64 v[0:1], v[4:5], -v[6:7]
	v_add_f64 v[6:7], v[6:7], v[68:69]
	v_add_f64 v[68:69], v[2:3], -v[4:5]
	v_add_f64 v[4:5], v[4:5], v[0:1]
	v_add_f64 v[0:1], v[28:29], -v[2:3]
	v_add_f64 v[2:3], v[2:3], v[68:69]
	v_add_f64 v[68:69], v[50:51], -v[28:29]
	v_add_f64 v[28:29], v[28:29], v[0:1]
	v_add_f64 v[0:1], v[16:17], -v[50:51]
	v_add_f64 v[50:51], v[50:51], v[68:69]
	v_add_f64 v[68:69], v[14:15], -v[16:17]
	v_add_f64 v[16:17], v[16:17], v[0:1]
	v_add_f64 v[0:1], v[10:11], -v[14:15]
	v_add_f64 v[14:15], v[14:15], v[68:69]
	v_add_f64 v[68:69], v[48:49], -v[10:11]
	v_add_f64 v[10:11], v[10:11], v[0:1]
	v_add_f64 v[0:1], v[24:25], -v[48:49]
	v_add_f64 v[48:49], v[48:49], v[68:69]
	v_add_f64 v[68:69], v[22:23], -v[24:25]
	v_add_f64 v[24:25], v[24:25], v[0:1]
	v_add_f64 v[0:1], v[12:13], -v[22:23]
	v_add_f64 v[22:23], v[22:23], v[68:69]
	v_add_f64 v[68:69], v[34:35], -v[12:13]
	v_add_f64 v[12:13], v[12:13], v[0:1]
	v_add_f64 v[0:1], v[8:9], -v[34:35]
	v_add_f64 v[34:35], v[34:35], v[68:69]
	v_add_f64 v[68:69], v[32:33], -v[8:9]
	v_add_f64 v[8:9], v[8:9], v[0:1]
	v_add_f64 v[0:1], v[30:31], -v[32:33]
	v_add_f64 v[32:33], v[32:33], v[68:69]
	v_add_f64 v[68:69], v[26:27], -v[30:31]
	v_add_f64 v[30:31], v[30:31], v[0:1]
	v_add_f64 v[0:1], v[20:21], -v[26:27]
	v_add_f64 v[26:27], v[26:27], v[68:69]
	v_add_f64 v[68:69], v[18:19], -v[20:21]
	v_add_f64 v[20:21], v[20:21], v[0:1]
	v_add_f64 v[0:1], v[46:47], -v[18:19]
	v_add_f64 v[18:19], v[18:19], v[68:69]
	v_add_f64 v[68:69], v[44:45], -v[46:47]
	v_add_f64 v[46:47], v[46:47], v[0:1]
	v_add_f64 v[0:1], v[38:39], -v[44:45]
	v_add_f64 v[44:45], v[44:45], v[68:69]
	v_add_f64 v[68:69], v[36:37], -v[38:39]
	v_add_f64 v[38:39], v[38:39], v[0:1]
	v_add_f64 v[0:1], v[40:41], -v[36:37]
	v_add_f64 v[36:37], v[36:37], v[68:69]
	v_add_f64 v[68:69], v[42:43], -v[40:41]
	s_add_i32 s7, s7, -1
	v_add_f64 v[40:41], v[40:41], v[0:1]
	v_add_f64 v[42:43], v[42:43], v[68:69]
	s_cmp_lg_u32 s7, 0
	s_barrier
	s_cbranch_scc0 .LBB59_5
.LBB59_3:                               ; =>This Inner Loop Header: Depth=1
	v_mov_b32_e32 v0, 0
	v_mov_b32_e32 v1, 0x405ec000
	s_waitcnt vmcnt(3)
	ds_write_b64 v66, v[42:43]
	s_waitcnt lgkmcnt(0)
	s_barrier
	s_and_saveexec_b64 s[0:1], vcc
	s_cbranch_execz .LBB59_2
; %bb.4:                                ;   in Loop: Header=BB59_3 Depth=1
	ds_read_b64 v[0:1], v67
	s_branch .LBB59_2
.LBB59_5:
	s_add_u32 s0, s2, s4
	s_addc_u32 s1, s3, s5
	v_mov_b32_e32 v0, s1
	v_add_co_u32_e32 v67, vcc, s0, v66
	v_addc_co_u32_e32 v68, vcc, 0, v0, vcc
	v_add_co_u32_e32 v0, vcc, 0x1000, v67
	v_addc_co_u32_e32 v1, vcc, 0, v68, vcc
	s_waitcnt vmcnt(2)
	global_store_dwordx2 v66, v[62:63], s[0:1]
	s_waitcnt vmcnt(1)
	global_store_dwordx2 v66, v[64:65], s[0:1] offset:2048
	global_store_dwordx2 v[0:1], v[58:59], off
	global_store_dwordx2 v[0:1], v[60:61], off offset:2048
	v_add_co_u32_e32 v0, vcc, 0x2000, v67
	v_addc_co_u32_e32 v1, vcc, 0, v68, vcc
	global_store_dwordx2 v[0:1], v[56:57], off
	global_store_dwordx2 v[0:1], v[54:55], off offset:2048
	v_add_co_u32_e32 v0, vcc, 0x3000, v67
	v_addc_co_u32_e32 v1, vcc, 0, v68, vcc
	;; [unrolled: 4-line block ×14, first 2 shown]
	global_store_dwordx2 v[0:1], v[40:41], off
	global_store_dwordx2 v[0:1], v[42:43], off offset:2048
	s_endpgm
	.section	.rodata,"a",@progbits
	.p2align	6, 0x0
	.amdhsa_kernel _Z6kernelI13subtract_leftLj256ELj32ELb1EJPdS1_jEEvDpT3_
		.amdhsa_group_segment_fixed_size 4096
		.amdhsa_private_segment_fixed_size 0
		.amdhsa_kernarg_size 20
		.amdhsa_user_sgpr_count 6
		.amdhsa_user_sgpr_private_segment_buffer 1
		.amdhsa_user_sgpr_dispatch_ptr 0
		.amdhsa_user_sgpr_queue_ptr 0
		.amdhsa_user_sgpr_kernarg_segment_ptr 1
		.amdhsa_user_sgpr_dispatch_id 0
		.amdhsa_user_sgpr_flat_scratch_init 0
		.amdhsa_user_sgpr_kernarg_preload_length 0
		.amdhsa_user_sgpr_kernarg_preload_offset 0
		.amdhsa_user_sgpr_private_segment_size 0
		.amdhsa_uses_dynamic_stack 0
		.amdhsa_system_sgpr_private_segment_wavefront_offset 0
		.amdhsa_system_sgpr_workgroup_id_x 1
		.amdhsa_system_sgpr_workgroup_id_y 0
		.amdhsa_system_sgpr_workgroup_id_z 0
		.amdhsa_system_sgpr_workgroup_info 0
		.amdhsa_system_vgpr_workitem_id 0
		.amdhsa_next_free_vgpr 80
		.amdhsa_next_free_sgpr 8
		.amdhsa_accum_offset 80
		.amdhsa_reserve_vcc 1
		.amdhsa_reserve_flat_scratch 0
		.amdhsa_float_round_mode_32 0
		.amdhsa_float_round_mode_16_64 0
		.amdhsa_float_denorm_mode_32 3
		.amdhsa_float_denorm_mode_16_64 3
		.amdhsa_dx10_clamp 1
		.amdhsa_ieee_mode 1
		.amdhsa_fp16_overflow 0
		.amdhsa_tg_split 0
		.amdhsa_exception_fp_ieee_invalid_op 0
		.amdhsa_exception_fp_denorm_src 0
		.amdhsa_exception_fp_ieee_div_zero 0
		.amdhsa_exception_fp_ieee_overflow 0
		.amdhsa_exception_fp_ieee_underflow 0
		.amdhsa_exception_fp_ieee_inexact 0
		.amdhsa_exception_int_div_zero 0
	.end_amdhsa_kernel
	.section	.text._Z6kernelI13subtract_leftLj256ELj32ELb1EJPdS1_jEEvDpT3_,"axG",@progbits,_Z6kernelI13subtract_leftLj256ELj32ELb1EJPdS1_jEEvDpT3_,comdat
.Lfunc_end59:
	.size	_Z6kernelI13subtract_leftLj256ELj32ELb1EJPdS1_jEEvDpT3_, .Lfunc_end59-_Z6kernelI13subtract_leftLj256ELj32ELb1EJPdS1_jEEvDpT3_
                                        ; -- End function
	.section	.AMDGPU.csdata,"",@progbits
; Kernel info:
; codeLenInByte = 1600
; NumSgprs: 12
; NumVgprs: 80
; NumAgprs: 0
; TotalNumVgprs: 80
; ScratchSize: 0
; MemoryBound: 0
; FloatMode: 240
; IeeeMode: 1
; LDSByteSize: 4096 bytes/workgroup (compile time only)
; SGPRBlocks: 1
; VGPRBlocks: 9
; NumSGPRsForWavesPerEU: 12
; NumVGPRsForWavesPerEU: 80
; AccumOffset: 80
; Occupancy: 6
; WaveLimiterHint : 1
; COMPUTE_PGM_RSRC2:SCRATCH_EN: 0
; COMPUTE_PGM_RSRC2:USER_SGPR: 6
; COMPUTE_PGM_RSRC2:TRAP_HANDLER: 0
; COMPUTE_PGM_RSRC2:TGID_X_EN: 1
; COMPUTE_PGM_RSRC2:TGID_Y_EN: 0
; COMPUTE_PGM_RSRC2:TGID_Z_EN: 0
; COMPUTE_PGM_RSRC2:TIDIG_COMP_CNT: 0
; COMPUTE_PGM_RSRC3_GFX90A:ACCUM_OFFSET: 19
; COMPUTE_PGM_RSRC3_GFX90A:TG_SPLIT: 0
	.section	.text._Z6kernelI14subtract_rightLj256ELj1ELb0EJPiS1_jEEvDpT3_,"axG",@progbits,_Z6kernelI14subtract_rightLj256ELj1ELb0EJPiS1_jEEvDpT3_,comdat
	.protected	_Z6kernelI14subtract_rightLj256ELj1ELb0EJPiS1_jEEvDpT3_ ; -- Begin function _Z6kernelI14subtract_rightLj256ELj1ELb0EJPiS1_jEEvDpT3_
	.globl	_Z6kernelI14subtract_rightLj256ELj1ELb0EJPiS1_jEEvDpT3_
	.p2align	8
	.type	_Z6kernelI14subtract_rightLj256ELj1ELb0EJPiS1_jEEvDpT3_,@function
_Z6kernelI14subtract_rightLj256ELj1ELb0EJPiS1_jEEvDpT3_: ; @_Z6kernelI14subtract_rightLj256ELj1ELb0EJPiS1_jEEvDpT3_
; %bb.0:
	s_load_dwordx4 s[0:3], s[4:5], 0x0
	s_load_dword s7, s[4:5], 0x10
	s_lshl_b32 s4, s6, 8
	s_mov_b32 s5, 0
	s_lshl_b64 s[4:5], s[4:5], 2
	s_waitcnt lgkmcnt(0)
	s_add_u32 s0, s0, s4
	s_addc_u32 s1, s1, s5
	v_lshlrev_b32_e32 v1, 2, v0
	global_load_dword v2, v1, s[0:1]
	s_cmp_eq_u32 s7, 0
	s_cbranch_scc1 .LBB60_5
; %bb.1:
	s_movk_i32 s0, 0xff
	v_cmp_ne_u32_e32 vcc, s0, v0
	v_or_b32_e32 v0, 0x400, v1
	s_branch .LBB60_3
.LBB60_2:                               ;   in Loop: Header=BB60_3 Depth=1
	s_or_b64 exec, exec, s[0:1]
	s_add_i32 s7, s7, -1
	v_add_u32_e32 v2, v3, v2
	s_cmp_lg_u32 s7, 0
	s_barrier
	s_cbranch_scc0 .LBB60_5
.LBB60_3:                               ; =>This Inner Loop Header: Depth=1
	s_waitcnt vmcnt(0)
	v_mov_b32_e32 v3, v2
	ds_write_b32 v1, v2 offset:1024
	s_waitcnt lgkmcnt(0)
	s_barrier
	s_and_saveexec_b64 s[0:1], vcc
	s_cbranch_execz .LBB60_2
; %bb.4:                                ;   in Loop: Header=BB60_3 Depth=1
	ds_read_b32 v3, v0 offset:4
	s_waitcnt lgkmcnt(0)
	v_sub_u32_e32 v3, v2, v3
	s_branch .LBB60_2
.LBB60_5:
	s_add_u32 s0, s2, s4
	s_addc_u32 s1, s3, s5
	s_waitcnt vmcnt(0)
	global_store_dword v1, v2, s[0:1]
	s_endpgm
	.section	.rodata,"a",@progbits
	.p2align	6, 0x0
	.amdhsa_kernel _Z6kernelI14subtract_rightLj256ELj1ELb0EJPiS1_jEEvDpT3_
		.amdhsa_group_segment_fixed_size 2048
		.amdhsa_private_segment_fixed_size 0
		.amdhsa_kernarg_size 20
		.amdhsa_user_sgpr_count 6
		.amdhsa_user_sgpr_private_segment_buffer 1
		.amdhsa_user_sgpr_dispatch_ptr 0
		.amdhsa_user_sgpr_queue_ptr 0
		.amdhsa_user_sgpr_kernarg_segment_ptr 1
		.amdhsa_user_sgpr_dispatch_id 0
		.amdhsa_user_sgpr_flat_scratch_init 0
		.amdhsa_user_sgpr_kernarg_preload_length 0
		.amdhsa_user_sgpr_kernarg_preload_offset 0
		.amdhsa_user_sgpr_private_segment_size 0
		.amdhsa_uses_dynamic_stack 0
		.amdhsa_system_sgpr_private_segment_wavefront_offset 0
		.amdhsa_system_sgpr_workgroup_id_x 1
		.amdhsa_system_sgpr_workgroup_id_y 0
		.amdhsa_system_sgpr_workgroup_id_z 0
		.amdhsa_system_sgpr_workgroup_info 0
		.amdhsa_system_vgpr_workitem_id 0
		.amdhsa_next_free_vgpr 4
		.amdhsa_next_free_sgpr 8
		.amdhsa_accum_offset 4
		.amdhsa_reserve_vcc 1
		.amdhsa_reserve_flat_scratch 0
		.amdhsa_float_round_mode_32 0
		.amdhsa_float_round_mode_16_64 0
		.amdhsa_float_denorm_mode_32 3
		.amdhsa_float_denorm_mode_16_64 3
		.amdhsa_dx10_clamp 1
		.amdhsa_ieee_mode 1
		.amdhsa_fp16_overflow 0
		.amdhsa_tg_split 0
		.amdhsa_exception_fp_ieee_invalid_op 0
		.amdhsa_exception_fp_denorm_src 0
		.amdhsa_exception_fp_ieee_div_zero 0
		.amdhsa_exception_fp_ieee_overflow 0
		.amdhsa_exception_fp_ieee_underflow 0
		.amdhsa_exception_fp_ieee_inexact 0
		.amdhsa_exception_int_div_zero 0
	.end_amdhsa_kernel
	.section	.text._Z6kernelI14subtract_rightLj256ELj1ELb0EJPiS1_jEEvDpT3_,"axG",@progbits,_Z6kernelI14subtract_rightLj256ELj1ELb0EJPiS1_jEEvDpT3_,comdat
.Lfunc_end60:
	.size	_Z6kernelI14subtract_rightLj256ELj1ELb0EJPiS1_jEEvDpT3_, .Lfunc_end60-_Z6kernelI14subtract_rightLj256ELj1ELb0EJPiS1_jEEvDpT3_
                                        ; -- End function
	.section	.AMDGPU.csdata,"",@progbits
; Kernel info:
; codeLenInByte = 180
; NumSgprs: 12
; NumVgprs: 4
; NumAgprs: 0
; TotalNumVgprs: 4
; ScratchSize: 0
; MemoryBound: 0
; FloatMode: 240
; IeeeMode: 1
; LDSByteSize: 2048 bytes/workgroup (compile time only)
; SGPRBlocks: 1
; VGPRBlocks: 0
; NumSGPRsForWavesPerEU: 12
; NumVGPRsForWavesPerEU: 4
; AccumOffset: 4
; Occupancy: 8
; WaveLimiterHint : 0
; COMPUTE_PGM_RSRC2:SCRATCH_EN: 0
; COMPUTE_PGM_RSRC2:USER_SGPR: 6
; COMPUTE_PGM_RSRC2:TRAP_HANDLER: 0
; COMPUTE_PGM_RSRC2:TGID_X_EN: 1
; COMPUTE_PGM_RSRC2:TGID_Y_EN: 0
; COMPUTE_PGM_RSRC2:TGID_Z_EN: 0
; COMPUTE_PGM_RSRC2:TIDIG_COMP_CNT: 0
; COMPUTE_PGM_RSRC3_GFX90A:ACCUM_OFFSET: 0
; COMPUTE_PGM_RSRC3_GFX90A:TG_SPLIT: 0
	.section	.text._Z6kernelI14subtract_rightLj256ELj3ELb0EJPiS1_jEEvDpT3_,"axG",@progbits,_Z6kernelI14subtract_rightLj256ELj3ELb0EJPiS1_jEEvDpT3_,comdat
	.protected	_Z6kernelI14subtract_rightLj256ELj3ELb0EJPiS1_jEEvDpT3_ ; -- Begin function _Z6kernelI14subtract_rightLj256ELj3ELb0EJPiS1_jEEvDpT3_
	.globl	_Z6kernelI14subtract_rightLj256ELj3ELb0EJPiS1_jEEvDpT3_
	.p2align	8
	.type	_Z6kernelI14subtract_rightLj256ELj3ELb0EJPiS1_jEEvDpT3_,@function
_Z6kernelI14subtract_rightLj256ELj3ELb0EJPiS1_jEEvDpT3_: ; @_Z6kernelI14subtract_rightLj256ELj3ELb0EJPiS1_jEEvDpT3_
; %bb.0:
	s_load_dwordx4 s[0:3], s[4:5], 0x0
	s_load_dword s7, s[4:5], 0x10
	s_mul_i32 s4, s6, 0x300
	s_mov_b32 s5, 0
	s_lshl_b64 s[4:5], s[4:5], 2
	s_waitcnt lgkmcnt(0)
	s_add_u32 s0, s0, s4
	s_addc_u32 s1, s1, s5
	v_lshlrev_b32_e32 v1, 2, v0
	global_load_dword v4, v1, s[0:1]
	global_load_dword v3, v1, s[0:1] offset:1024
	global_load_dword v2, v1, s[0:1] offset:2048
	s_cmp_eq_u32 s7, 0
	s_cbranch_scc1 .LBB61_5
; %bb.1:
	s_movk_i32 s0, 0xff
	v_cmp_ne_u32_e32 vcc, s0, v0
	v_or_b32_e32 v0, 0x400, v1
	s_branch .LBB61_3
.LBB61_2:                               ;   in Loop: Header=BB61_3 Depth=1
	s_or_b64 exec, exec, s[0:1]
	v_sub_u32_e32 v6, v4, v3
	v_sub_u32_e32 v7, v3, v2
	s_add_i32 s7, s7, -1
	v_add_u32_e32 v4, v6, v4
	v_add_u32_e32 v3, v7, v3
	;; [unrolled: 1-line block ×3, first 2 shown]
	s_cmp_lg_u32 s7, 0
	s_barrier
	s_cbranch_scc0 .LBB61_5
.LBB61_3:                               ; =>This Inner Loop Header: Depth=1
	s_waitcnt vmcnt(0)
	v_mov_b32_e32 v5, v2
	ds_write_b32 v1, v4 offset:1024
	s_waitcnt lgkmcnt(0)
	s_barrier
	s_and_saveexec_b64 s[0:1], vcc
	s_cbranch_execz .LBB61_2
; %bb.4:                                ;   in Loop: Header=BB61_3 Depth=1
	ds_read_b32 v5, v0 offset:4
	s_waitcnt lgkmcnt(0)
	v_sub_u32_e32 v5, v2, v5
	s_branch .LBB61_2
.LBB61_5:
	s_add_u32 s0, s2, s4
	s_addc_u32 s1, s3, s5
	s_waitcnt vmcnt(2)
	global_store_dword v1, v4, s[0:1]
	s_waitcnt vmcnt(2)
	global_store_dword v1, v3, s[0:1] offset:1024
	s_waitcnt vmcnt(2)
	global_store_dword v1, v2, s[0:1] offset:2048
	s_endpgm
	.section	.rodata,"a",@progbits
	.p2align	6, 0x0
	.amdhsa_kernel _Z6kernelI14subtract_rightLj256ELj3ELb0EJPiS1_jEEvDpT3_
		.amdhsa_group_segment_fixed_size 2048
		.amdhsa_private_segment_fixed_size 0
		.amdhsa_kernarg_size 20
		.amdhsa_user_sgpr_count 6
		.amdhsa_user_sgpr_private_segment_buffer 1
		.amdhsa_user_sgpr_dispatch_ptr 0
		.amdhsa_user_sgpr_queue_ptr 0
		.amdhsa_user_sgpr_kernarg_segment_ptr 1
		.amdhsa_user_sgpr_dispatch_id 0
		.amdhsa_user_sgpr_flat_scratch_init 0
		.amdhsa_user_sgpr_kernarg_preload_length 0
		.amdhsa_user_sgpr_kernarg_preload_offset 0
		.amdhsa_user_sgpr_private_segment_size 0
		.amdhsa_uses_dynamic_stack 0
		.amdhsa_system_sgpr_private_segment_wavefront_offset 0
		.amdhsa_system_sgpr_workgroup_id_x 1
		.amdhsa_system_sgpr_workgroup_id_y 0
		.amdhsa_system_sgpr_workgroup_id_z 0
		.amdhsa_system_sgpr_workgroup_info 0
		.amdhsa_system_vgpr_workitem_id 0
		.amdhsa_next_free_vgpr 8
		.amdhsa_next_free_sgpr 8
		.amdhsa_accum_offset 8
		.amdhsa_reserve_vcc 1
		.amdhsa_reserve_flat_scratch 0
		.amdhsa_float_round_mode_32 0
		.amdhsa_float_round_mode_16_64 0
		.amdhsa_float_denorm_mode_32 3
		.amdhsa_float_denorm_mode_16_64 3
		.amdhsa_dx10_clamp 1
		.amdhsa_ieee_mode 1
		.amdhsa_fp16_overflow 0
		.amdhsa_tg_split 0
		.amdhsa_exception_fp_ieee_invalid_op 0
		.amdhsa_exception_fp_denorm_src 0
		.amdhsa_exception_fp_ieee_div_zero 0
		.amdhsa_exception_fp_ieee_overflow 0
		.amdhsa_exception_fp_ieee_underflow 0
		.amdhsa_exception_fp_ieee_inexact 0
		.amdhsa_exception_int_div_zero 0
	.end_amdhsa_kernel
	.section	.text._Z6kernelI14subtract_rightLj256ELj3ELb0EJPiS1_jEEvDpT3_,"axG",@progbits,_Z6kernelI14subtract_rightLj256ELj3ELb0EJPiS1_jEEvDpT3_,comdat
.Lfunc_end61:
	.size	_Z6kernelI14subtract_rightLj256ELj3ELb0EJPiS1_jEEvDpT3_, .Lfunc_end61-_Z6kernelI14subtract_rightLj256ELj3ELb0EJPiS1_jEEvDpT3_
                                        ; -- End function
	.section	.AMDGPU.csdata,"",@progbits
; Kernel info:
; codeLenInByte = 240
; NumSgprs: 12
; NumVgprs: 8
; NumAgprs: 0
; TotalNumVgprs: 8
; ScratchSize: 0
; MemoryBound: 0
; FloatMode: 240
; IeeeMode: 1
; LDSByteSize: 2048 bytes/workgroup (compile time only)
; SGPRBlocks: 1
; VGPRBlocks: 0
; NumSGPRsForWavesPerEU: 12
; NumVGPRsForWavesPerEU: 8
; AccumOffset: 8
; Occupancy: 8
; WaveLimiterHint : 1
; COMPUTE_PGM_RSRC2:SCRATCH_EN: 0
; COMPUTE_PGM_RSRC2:USER_SGPR: 6
; COMPUTE_PGM_RSRC2:TRAP_HANDLER: 0
; COMPUTE_PGM_RSRC2:TGID_X_EN: 1
; COMPUTE_PGM_RSRC2:TGID_Y_EN: 0
; COMPUTE_PGM_RSRC2:TGID_Z_EN: 0
; COMPUTE_PGM_RSRC2:TIDIG_COMP_CNT: 0
; COMPUTE_PGM_RSRC3_GFX90A:ACCUM_OFFSET: 1
; COMPUTE_PGM_RSRC3_GFX90A:TG_SPLIT: 0
	.section	.text._Z6kernelI14subtract_rightLj256ELj4ELb0EJPiS1_jEEvDpT3_,"axG",@progbits,_Z6kernelI14subtract_rightLj256ELj4ELb0EJPiS1_jEEvDpT3_,comdat
	.protected	_Z6kernelI14subtract_rightLj256ELj4ELb0EJPiS1_jEEvDpT3_ ; -- Begin function _Z6kernelI14subtract_rightLj256ELj4ELb0EJPiS1_jEEvDpT3_
	.globl	_Z6kernelI14subtract_rightLj256ELj4ELb0EJPiS1_jEEvDpT3_
	.p2align	8
	.type	_Z6kernelI14subtract_rightLj256ELj4ELb0EJPiS1_jEEvDpT3_,@function
_Z6kernelI14subtract_rightLj256ELj4ELb0EJPiS1_jEEvDpT3_: ; @_Z6kernelI14subtract_rightLj256ELj4ELb0EJPiS1_jEEvDpT3_
; %bb.0:
	s_load_dwordx4 s[0:3], s[4:5], 0x0
	s_load_dword s7, s[4:5], 0x10
	s_lshl_b32 s4, s6, 10
	s_mov_b32 s5, 0
	s_lshl_b64 s[4:5], s[4:5], 2
	s_waitcnt lgkmcnt(0)
	s_add_u32 s0, s0, s4
	s_addc_u32 s1, s1, s5
	v_lshlrev_b32_e32 v1, 2, v0
	global_load_dword v5, v1, s[0:1]
	global_load_dword v4, v1, s[0:1] offset:1024
	global_load_dword v3, v1, s[0:1] offset:2048
	;; [unrolled: 1-line block ×3, first 2 shown]
	s_cmp_eq_u32 s7, 0
	s_cbranch_scc1 .LBB62_5
; %bb.1:
	s_movk_i32 s0, 0xff
	v_cmp_ne_u32_e32 vcc, s0, v0
	v_or_b32_e32 v0, 0x400, v1
	s_branch .LBB62_3
.LBB62_2:                               ;   in Loop: Header=BB62_3 Depth=1
	s_or_b64 exec, exec, s[0:1]
	v_sub_u32_e32 v7, v5, v4
	v_sub_u32_e32 v8, v4, v3
	v_sub_u32_e32 v9, v3, v2
	s_add_i32 s7, s7, -1
	v_add_u32_e32 v5, v7, v5
	v_add_u32_e32 v4, v8, v4
	;; [unrolled: 1-line block ×4, first 2 shown]
	s_cmp_lg_u32 s7, 0
	s_barrier
	s_cbranch_scc0 .LBB62_5
.LBB62_3:                               ; =>This Inner Loop Header: Depth=1
	s_waitcnt vmcnt(0)
	v_mov_b32_e32 v6, v2
	ds_write_b32 v1, v5 offset:1024
	s_waitcnt lgkmcnt(0)
	s_barrier
	s_and_saveexec_b64 s[0:1], vcc
	s_cbranch_execz .LBB62_2
; %bb.4:                                ;   in Loop: Header=BB62_3 Depth=1
	ds_read_b32 v6, v0 offset:4
	s_waitcnt lgkmcnt(0)
	v_sub_u32_e32 v6, v2, v6
	s_branch .LBB62_2
.LBB62_5:
	s_add_u32 s0, s2, s4
	s_addc_u32 s1, s3, s5
	s_waitcnt vmcnt(3)
	global_store_dword v1, v5, s[0:1]
	s_waitcnt vmcnt(3)
	global_store_dword v1, v4, s[0:1] offset:1024
	s_waitcnt vmcnt(3)
	global_store_dword v1, v3, s[0:1] offset:2048
	;; [unrolled: 2-line block ×3, first 2 shown]
	s_endpgm
	.section	.rodata,"a",@progbits
	.p2align	6, 0x0
	.amdhsa_kernel _Z6kernelI14subtract_rightLj256ELj4ELb0EJPiS1_jEEvDpT3_
		.amdhsa_group_segment_fixed_size 2048
		.amdhsa_private_segment_fixed_size 0
		.amdhsa_kernarg_size 20
		.amdhsa_user_sgpr_count 6
		.amdhsa_user_sgpr_private_segment_buffer 1
		.amdhsa_user_sgpr_dispatch_ptr 0
		.amdhsa_user_sgpr_queue_ptr 0
		.amdhsa_user_sgpr_kernarg_segment_ptr 1
		.amdhsa_user_sgpr_dispatch_id 0
		.amdhsa_user_sgpr_flat_scratch_init 0
		.amdhsa_user_sgpr_kernarg_preload_length 0
		.amdhsa_user_sgpr_kernarg_preload_offset 0
		.amdhsa_user_sgpr_private_segment_size 0
		.amdhsa_uses_dynamic_stack 0
		.amdhsa_system_sgpr_private_segment_wavefront_offset 0
		.amdhsa_system_sgpr_workgroup_id_x 1
		.amdhsa_system_sgpr_workgroup_id_y 0
		.amdhsa_system_sgpr_workgroup_id_z 0
		.amdhsa_system_sgpr_workgroup_info 0
		.amdhsa_system_vgpr_workitem_id 0
		.amdhsa_next_free_vgpr 10
		.amdhsa_next_free_sgpr 8
		.amdhsa_accum_offset 12
		.amdhsa_reserve_vcc 1
		.amdhsa_reserve_flat_scratch 0
		.amdhsa_float_round_mode_32 0
		.amdhsa_float_round_mode_16_64 0
		.amdhsa_float_denorm_mode_32 3
		.amdhsa_float_denorm_mode_16_64 3
		.amdhsa_dx10_clamp 1
		.amdhsa_ieee_mode 1
		.amdhsa_fp16_overflow 0
		.amdhsa_tg_split 0
		.amdhsa_exception_fp_ieee_invalid_op 0
		.amdhsa_exception_fp_denorm_src 0
		.amdhsa_exception_fp_ieee_div_zero 0
		.amdhsa_exception_fp_ieee_overflow 0
		.amdhsa_exception_fp_ieee_underflow 0
		.amdhsa_exception_fp_ieee_inexact 0
		.amdhsa_exception_int_div_zero 0
	.end_amdhsa_kernel
	.section	.text._Z6kernelI14subtract_rightLj256ELj4ELb0EJPiS1_jEEvDpT3_,"axG",@progbits,_Z6kernelI14subtract_rightLj256ELj4ELb0EJPiS1_jEEvDpT3_,comdat
.Lfunc_end62:
	.size	_Z6kernelI14subtract_rightLj256ELj4ELb0EJPiS1_jEEvDpT3_, .Lfunc_end62-_Z6kernelI14subtract_rightLj256ELj4ELb0EJPiS1_jEEvDpT3_
                                        ; -- End function
	.section	.AMDGPU.csdata,"",@progbits
; Kernel info:
; codeLenInByte = 264
; NumSgprs: 12
; NumVgprs: 10
; NumAgprs: 0
; TotalNumVgprs: 10
; ScratchSize: 0
; MemoryBound: 0
; FloatMode: 240
; IeeeMode: 1
; LDSByteSize: 2048 bytes/workgroup (compile time only)
; SGPRBlocks: 1
; VGPRBlocks: 1
; NumSGPRsForWavesPerEU: 12
; NumVGPRsForWavesPerEU: 10
; AccumOffset: 12
; Occupancy: 8
; WaveLimiterHint : 1
; COMPUTE_PGM_RSRC2:SCRATCH_EN: 0
; COMPUTE_PGM_RSRC2:USER_SGPR: 6
; COMPUTE_PGM_RSRC2:TRAP_HANDLER: 0
; COMPUTE_PGM_RSRC2:TGID_X_EN: 1
; COMPUTE_PGM_RSRC2:TGID_Y_EN: 0
; COMPUTE_PGM_RSRC2:TGID_Z_EN: 0
; COMPUTE_PGM_RSRC2:TIDIG_COMP_CNT: 0
; COMPUTE_PGM_RSRC3_GFX90A:ACCUM_OFFSET: 2
; COMPUTE_PGM_RSRC3_GFX90A:TG_SPLIT: 0
	.section	.text._Z6kernelI14subtract_rightLj256ELj8ELb0EJPiS1_jEEvDpT3_,"axG",@progbits,_Z6kernelI14subtract_rightLj256ELj8ELb0EJPiS1_jEEvDpT3_,comdat
	.protected	_Z6kernelI14subtract_rightLj256ELj8ELb0EJPiS1_jEEvDpT3_ ; -- Begin function _Z6kernelI14subtract_rightLj256ELj8ELb0EJPiS1_jEEvDpT3_
	.globl	_Z6kernelI14subtract_rightLj256ELj8ELb0EJPiS1_jEEvDpT3_
	.p2align	8
	.type	_Z6kernelI14subtract_rightLj256ELj8ELb0EJPiS1_jEEvDpT3_,@function
_Z6kernelI14subtract_rightLj256ELj8ELb0EJPiS1_jEEvDpT3_: ; @_Z6kernelI14subtract_rightLj256ELj8ELb0EJPiS1_jEEvDpT3_
; %bb.0:
	s_load_dwordx4 s[0:3], s[4:5], 0x0
	s_load_dword s7, s[4:5], 0x10
	s_lshl_b32 s4, s6, 11
	s_mov_b32 s5, 0
	s_lshl_b64 s[4:5], s[4:5], 2
	s_waitcnt lgkmcnt(0)
	s_add_u32 s0, s0, s4
	s_addc_u32 s1, s1, s5
	v_lshlrev_b32_e32 v1, 2, v0
	v_mov_b32_e32 v2, s1
	v_add_co_u32_e32 v3, vcc, s0, v1
	v_addc_co_u32_e32 v2, vcc, 0, v2, vcc
	v_add_co_u32_e32 v10, vcc, 0x1000, v3
	v_addc_co_u32_e32 v11, vcc, 0, v2, vcc
	global_load_dword v9, v1, s[0:1]
	global_load_dword v8, v1, s[0:1] offset:1024
	global_load_dword v7, v1, s[0:1] offset:2048
	;; [unrolled: 1-line block ×3, first 2 shown]
	global_load_dword v5, v[10:11], off
	global_load_dword v4, v[10:11], off offset:1024
	global_load_dword v3, v[10:11], off offset:2048
	;; [unrolled: 1-line block ×3, first 2 shown]
	s_cmp_eq_u32 s7, 0
	s_cbranch_scc1 .LBB63_5
; %bb.1:
	s_movk_i32 s0, 0xff
	v_cmp_ne_u32_e32 vcc, s0, v0
	v_or_b32_e32 v0, 0x400, v1
	s_branch .LBB63_3
.LBB63_2:                               ;   in Loop: Header=BB63_3 Depth=1
	s_or_b64 exec, exec, s[0:1]
	v_lshlrev_b32_e32 v9, 1, v9
	v_sub_u32_e32 v9, v9, v8
	v_lshlrev_b32_e32 v8, 1, v8
	v_sub_u32_e32 v8, v8, v7
	;; [unrolled: 2-line block ×6, first 2 shown]
	v_lshlrev_b32_e32 v3, 1, v3
	s_add_i32 s7, s7, -1
	v_sub_u32_e32 v3, v3, v2
	v_add_u32_e32 v2, v10, v2
	s_cmp_lg_u32 s7, 0
	s_barrier
	s_cbranch_scc0 .LBB63_5
.LBB63_3:                               ; =>This Inner Loop Header: Depth=1
	s_waitcnt vmcnt(0)
	v_mov_b32_e32 v10, v2
	ds_write_b32 v1, v9 offset:1024
	s_waitcnt lgkmcnt(0)
	s_barrier
	s_and_saveexec_b64 s[0:1], vcc
	s_cbranch_execz .LBB63_2
; %bb.4:                                ;   in Loop: Header=BB63_3 Depth=1
	ds_read_b32 v10, v0 offset:4
	s_waitcnt lgkmcnt(0)
	v_sub_u32_e32 v10, v2, v10
	s_branch .LBB63_2
.LBB63_5:
	s_add_u32 s0, s2, s4
	s_addc_u32 s1, s3, s5
	v_mov_b32_e32 v0, s1
	v_add_co_u32_e32 v10, vcc, s0, v1
	v_addc_co_u32_e32 v11, vcc, 0, v0, vcc
	v_add_co_u32_e32 v0, vcc, 0x1000, v10
	s_waitcnt vmcnt(7)
	global_store_dword v1, v9, s[0:1]
	s_waitcnt vmcnt(7)
	global_store_dword v1, v8, s[0:1] offset:1024
	s_waitcnt vmcnt(7)
	global_store_dword v1, v7, s[0:1] offset:2048
	;; [unrolled: 2-line block ×3, first 2 shown]
	v_addc_co_u32_e32 v1, vcc, 0, v11, vcc
	s_waitcnt vmcnt(7)
	global_store_dword v[0:1], v5, off
	s_waitcnt vmcnt(7)
	global_store_dword v[0:1], v4, off offset:1024
	s_waitcnt vmcnt(7)
	global_store_dword v[0:1], v3, off offset:2048
	;; [unrolled: 2-line block ×3, first 2 shown]
	s_endpgm
	.section	.rodata,"a",@progbits
	.p2align	6, 0x0
	.amdhsa_kernel _Z6kernelI14subtract_rightLj256ELj8ELb0EJPiS1_jEEvDpT3_
		.amdhsa_group_segment_fixed_size 2048
		.amdhsa_private_segment_fixed_size 0
		.amdhsa_kernarg_size 20
		.amdhsa_user_sgpr_count 6
		.amdhsa_user_sgpr_private_segment_buffer 1
		.amdhsa_user_sgpr_dispatch_ptr 0
		.amdhsa_user_sgpr_queue_ptr 0
		.amdhsa_user_sgpr_kernarg_segment_ptr 1
		.amdhsa_user_sgpr_dispatch_id 0
		.amdhsa_user_sgpr_flat_scratch_init 0
		.amdhsa_user_sgpr_kernarg_preload_length 0
		.amdhsa_user_sgpr_kernarg_preload_offset 0
		.amdhsa_user_sgpr_private_segment_size 0
		.amdhsa_uses_dynamic_stack 0
		.amdhsa_system_sgpr_private_segment_wavefront_offset 0
		.amdhsa_system_sgpr_workgroup_id_x 1
		.amdhsa_system_sgpr_workgroup_id_y 0
		.amdhsa_system_sgpr_workgroup_id_z 0
		.amdhsa_system_sgpr_workgroup_info 0
		.amdhsa_system_vgpr_workitem_id 0
		.amdhsa_next_free_vgpr 12
		.amdhsa_next_free_sgpr 8
		.amdhsa_accum_offset 12
		.amdhsa_reserve_vcc 1
		.amdhsa_reserve_flat_scratch 0
		.amdhsa_float_round_mode_32 0
		.amdhsa_float_round_mode_16_64 0
		.amdhsa_float_denorm_mode_32 3
		.amdhsa_float_denorm_mode_16_64 3
		.amdhsa_dx10_clamp 1
		.amdhsa_ieee_mode 1
		.amdhsa_fp16_overflow 0
		.amdhsa_tg_split 0
		.amdhsa_exception_fp_ieee_invalid_op 0
		.amdhsa_exception_fp_denorm_src 0
		.amdhsa_exception_fp_ieee_div_zero 0
		.amdhsa_exception_fp_ieee_overflow 0
		.amdhsa_exception_fp_ieee_underflow 0
		.amdhsa_exception_fp_ieee_inexact 0
		.amdhsa_exception_int_div_zero 0
	.end_amdhsa_kernel
	.section	.text._Z6kernelI14subtract_rightLj256ELj8ELb0EJPiS1_jEEvDpT3_,"axG",@progbits,_Z6kernelI14subtract_rightLj256ELj8ELb0EJPiS1_jEEvDpT3_,comdat
.Lfunc_end63:
	.size	_Z6kernelI14subtract_rightLj256ELj8ELb0EJPiS1_jEEvDpT3_, .Lfunc_end63-_Z6kernelI14subtract_rightLj256ELj8ELb0EJPiS1_jEEvDpT3_
                                        ; -- End function
	.section	.AMDGPU.csdata,"",@progbits
; Kernel info:
; codeLenInByte = 424
; NumSgprs: 12
; NumVgprs: 12
; NumAgprs: 0
; TotalNumVgprs: 12
; ScratchSize: 0
; MemoryBound: 0
; FloatMode: 240
; IeeeMode: 1
; LDSByteSize: 2048 bytes/workgroup (compile time only)
; SGPRBlocks: 1
; VGPRBlocks: 1
; NumSGPRsForWavesPerEU: 12
; NumVGPRsForWavesPerEU: 12
; AccumOffset: 12
; Occupancy: 8
; WaveLimiterHint : 1
; COMPUTE_PGM_RSRC2:SCRATCH_EN: 0
; COMPUTE_PGM_RSRC2:USER_SGPR: 6
; COMPUTE_PGM_RSRC2:TRAP_HANDLER: 0
; COMPUTE_PGM_RSRC2:TGID_X_EN: 1
; COMPUTE_PGM_RSRC2:TGID_Y_EN: 0
; COMPUTE_PGM_RSRC2:TGID_Z_EN: 0
; COMPUTE_PGM_RSRC2:TIDIG_COMP_CNT: 0
; COMPUTE_PGM_RSRC3_GFX90A:ACCUM_OFFSET: 2
; COMPUTE_PGM_RSRC3_GFX90A:TG_SPLIT: 0
	.section	.text._Z6kernelI14subtract_rightLj256ELj16ELb0EJPiS1_jEEvDpT3_,"axG",@progbits,_Z6kernelI14subtract_rightLj256ELj16ELb0EJPiS1_jEEvDpT3_,comdat
	.protected	_Z6kernelI14subtract_rightLj256ELj16ELb0EJPiS1_jEEvDpT3_ ; -- Begin function _Z6kernelI14subtract_rightLj256ELj16ELb0EJPiS1_jEEvDpT3_
	.globl	_Z6kernelI14subtract_rightLj256ELj16ELb0EJPiS1_jEEvDpT3_
	.p2align	8
	.type	_Z6kernelI14subtract_rightLj256ELj16ELb0EJPiS1_jEEvDpT3_,@function
_Z6kernelI14subtract_rightLj256ELj16ELb0EJPiS1_jEEvDpT3_: ; @_Z6kernelI14subtract_rightLj256ELj16ELb0EJPiS1_jEEvDpT3_
; %bb.0:
	s_load_dwordx4 s[0:3], s[4:5], 0x0
	s_load_dword s7, s[4:5], 0x10
	s_lshl_b32 s4, s6, 12
	s_mov_b32 s5, 0
	s_lshl_b64 s[4:5], s[4:5], 2
	s_waitcnt lgkmcnt(0)
	s_add_u32 s0, s0, s4
	s_addc_u32 s1, s1, s5
	v_lshlrev_b32_e32 v1, 2, v0
	v_mov_b32_e32 v2, s1
	v_add_co_u32_e32 v6, vcc, s0, v1
	v_addc_co_u32_e32 v7, vcc, 0, v2, vcc
	s_movk_i32 s6, 0x1000
	v_add_co_u32_e32 v18, vcc, s6, v6
	v_addc_co_u32_e32 v19, vcc, 0, v7, vcc
	s_movk_i32 s6, 0x2000
	v_add_co_u32_e32 v20, vcc, s6, v6
	v_addc_co_u32_e32 v21, vcc, 0, v7, vcc
	v_add_co_u32_e32 v22, vcc, 0x3000, v6
	global_load_dword v5, v[20:21], off
	global_load_dword v4, v[20:21], off offset:1024
	global_load_dword v3, v[20:21], off offset:2048
	;; [unrolled: 1-line block ×3, first 2 shown]
	v_addc_co_u32_e32 v23, vcc, 0, v7, vcc
	global_load_dword v16, v1, s[0:1]
	global_load_dword v15, v1, s[0:1] offset:1024
	global_load_dword v14, v1, s[0:1] offset:2048
	;; [unrolled: 1-line block ×3, first 2 shown]
	global_load_dword v12, v[18:19], off offset:1024
	global_load_dword v11, v[18:19], off offset:2048
	;; [unrolled: 1-line block ×3, first 2 shown]
	global_load_dword v8, v[22:23], off
	global_load_dword v7, v[22:23], off offset:1024
	global_load_dword v6, v[22:23], off offset:2048
	global_load_dword v17, v[20:21], off offset:-4096
	global_load_dword v9, v[22:23], off offset:3072
	s_cmp_eq_u32 s7, 0
	s_cbranch_scc1 .LBB64_5
; %bb.1:
	s_movk_i32 s0, 0xff
	v_cmp_ne_u32_e32 vcc, s0, v0
	v_or_b32_e32 v0, 0x400, v1
	s_branch .LBB64_3
.LBB64_2:                               ;   in Loop: Header=BB64_3 Depth=1
	s_or_b64 exec, exec, s[0:1]
	v_sub_u32_e32 v19, v16, v15
	v_sub_u32_e32 v20, v15, v14
	v_sub_u32_e32 v21, v14, v13
	v_sub_u32_e32 v22, v13, v17
	v_sub_u32_e32 v23, v17, v12
	v_sub_u32_e32 v24, v12, v11
	v_sub_u32_e32 v25, v11, v10
	v_sub_u32_e32 v26, v10, v5
	v_sub_u32_e32 v27, v5, v4
	v_sub_u32_e32 v28, v4, v3
	v_sub_u32_e32 v29, v3, v2
	v_sub_u32_e32 v30, v2, v8
	v_sub_u32_e32 v31, v8, v7
	v_sub_u32_e32 v32, v7, v6
	v_sub_u32_e32 v33, v6, v9
	s_add_i32 s7, s7, -1
	v_add_u32_e32 v16, v19, v16
	v_add_u32_e32 v15, v20, v15
	v_add_u32_e32 v14, v21, v14
	v_add_u32_e32 v13, v22, v13
	v_add_u32_e32 v17, v23, v17
	v_add_u32_e32 v12, v24, v12
	v_add_u32_e32 v11, v25, v11
	v_add_u32_e32 v10, v26, v10
	v_add_u32_e32 v5, v27, v5
	v_add_u32_e32 v4, v28, v4
	v_add_u32_e32 v3, v29, v3
	v_add_u32_e32 v2, v30, v2
	v_add_u32_e32 v8, v31, v8
	v_add_u32_e32 v7, v32, v7
	v_add_u32_e32 v6, v33, v6
	v_add_u32_e32 v9, v18, v9
	s_cmp_lg_u32 s7, 0
	s_barrier
	s_cbranch_scc0 .LBB64_5
.LBB64_3:                               ; =>This Inner Loop Header: Depth=1
	s_waitcnt vmcnt(0)
	v_mov_b32_e32 v18, v9
	ds_write_b32 v1, v16 offset:1024
	s_waitcnt lgkmcnt(0)
	s_barrier
	s_and_saveexec_b64 s[0:1], vcc
	s_cbranch_execz .LBB64_2
; %bb.4:                                ;   in Loop: Header=BB64_3 Depth=1
	ds_read_b32 v18, v0 offset:4
	s_waitcnt lgkmcnt(0)
	v_sub_u32_e32 v18, v9, v18
	s_branch .LBB64_2
.LBB64_5:
	s_add_u32 s0, s2, s4
	s_addc_u32 s1, s3, s5
	v_mov_b32_e32 v0, s1
	v_add_co_u32_e32 v18, vcc, s0, v1
	v_addc_co_u32_e32 v19, vcc, 0, v0, vcc
	v_add_co_u32_e32 v0, vcc, 0x1000, v18
	s_waitcnt vmcnt(11)
	global_store_dword v1, v16, s[0:1]
	s_waitcnt vmcnt(11)
	global_store_dword v1, v15, s[0:1] offset:1024
	s_waitcnt vmcnt(11)
	global_store_dword v1, v14, s[0:1] offset:2048
	;; [unrolled: 2-line block ×3, first 2 shown]
	v_addc_co_u32_e32 v1, vcc, 0, v19, vcc
	s_waitcnt vmcnt(5)
	global_store_dword v[0:1], v17, off
	global_store_dword v[0:1], v12, off offset:1024
	global_store_dword v[0:1], v11, off offset:2048
	;; [unrolled: 1-line block ×3, first 2 shown]
	v_add_co_u32_e32 v0, vcc, 0x2000, v18
	v_addc_co_u32_e32 v1, vcc, 0, v19, vcc
	global_store_dword v[0:1], v5, off
	global_store_dword v[0:1], v4, off offset:1024
	global_store_dword v[0:1], v3, off offset:2048
	;; [unrolled: 1-line block ×3, first 2 shown]
	v_add_co_u32_e32 v0, vcc, 0x3000, v18
	v_addc_co_u32_e32 v1, vcc, 0, v19, vcc
	global_store_dword v[0:1], v8, off
	global_store_dword v[0:1], v7, off offset:1024
	global_store_dword v[0:1], v6, off offset:2048
	s_waitcnt vmcnt(15)
	global_store_dword v[0:1], v9, off offset:3072
	s_endpgm
	.section	.rodata,"a",@progbits
	.p2align	6, 0x0
	.amdhsa_kernel _Z6kernelI14subtract_rightLj256ELj16ELb0EJPiS1_jEEvDpT3_
		.amdhsa_group_segment_fixed_size 2048
		.amdhsa_private_segment_fixed_size 0
		.amdhsa_kernarg_size 20
		.amdhsa_user_sgpr_count 6
		.amdhsa_user_sgpr_private_segment_buffer 1
		.amdhsa_user_sgpr_dispatch_ptr 0
		.amdhsa_user_sgpr_queue_ptr 0
		.amdhsa_user_sgpr_kernarg_segment_ptr 1
		.amdhsa_user_sgpr_dispatch_id 0
		.amdhsa_user_sgpr_flat_scratch_init 0
		.amdhsa_user_sgpr_kernarg_preload_length 0
		.amdhsa_user_sgpr_kernarg_preload_offset 0
		.amdhsa_user_sgpr_private_segment_size 0
		.amdhsa_uses_dynamic_stack 0
		.amdhsa_system_sgpr_private_segment_wavefront_offset 0
		.amdhsa_system_sgpr_workgroup_id_x 1
		.amdhsa_system_sgpr_workgroup_id_y 0
		.amdhsa_system_sgpr_workgroup_id_z 0
		.amdhsa_system_sgpr_workgroup_info 0
		.amdhsa_system_vgpr_workitem_id 0
		.amdhsa_next_free_vgpr 34
		.amdhsa_next_free_sgpr 8
		.amdhsa_accum_offset 36
		.amdhsa_reserve_vcc 1
		.amdhsa_reserve_flat_scratch 0
		.amdhsa_float_round_mode_32 0
		.amdhsa_float_round_mode_16_64 0
		.amdhsa_float_denorm_mode_32 3
		.amdhsa_float_denorm_mode_16_64 3
		.amdhsa_dx10_clamp 1
		.amdhsa_ieee_mode 1
		.amdhsa_fp16_overflow 0
		.amdhsa_tg_split 0
		.amdhsa_exception_fp_ieee_invalid_op 0
		.amdhsa_exception_fp_denorm_src 0
		.amdhsa_exception_fp_ieee_div_zero 0
		.amdhsa_exception_fp_ieee_overflow 0
		.amdhsa_exception_fp_ieee_underflow 0
		.amdhsa_exception_fp_ieee_inexact 0
		.amdhsa_exception_int_div_zero 0
	.end_amdhsa_kernel
	.section	.text._Z6kernelI14subtract_rightLj256ELj16ELb0EJPiS1_jEEvDpT3_,"axG",@progbits,_Z6kernelI14subtract_rightLj256ELj16ELb0EJPiS1_jEEvDpT3_,comdat
.Lfunc_end64:
	.size	_Z6kernelI14subtract_rightLj256ELj16ELb0EJPiS1_jEEvDpT3_, .Lfunc_end64-_Z6kernelI14subtract_rightLj256ELj16ELb0EJPiS1_jEEvDpT3_
                                        ; -- End function
	.section	.AMDGPU.csdata,"",@progbits
; Kernel info:
; codeLenInByte = 656
; NumSgprs: 12
; NumVgprs: 34
; NumAgprs: 0
; TotalNumVgprs: 34
; ScratchSize: 0
; MemoryBound: 0
; FloatMode: 240
; IeeeMode: 1
; LDSByteSize: 2048 bytes/workgroup (compile time only)
; SGPRBlocks: 1
; VGPRBlocks: 4
; NumSGPRsForWavesPerEU: 12
; NumVGPRsForWavesPerEU: 34
; AccumOffset: 36
; Occupancy: 8
; WaveLimiterHint : 1
; COMPUTE_PGM_RSRC2:SCRATCH_EN: 0
; COMPUTE_PGM_RSRC2:USER_SGPR: 6
; COMPUTE_PGM_RSRC2:TRAP_HANDLER: 0
; COMPUTE_PGM_RSRC2:TGID_X_EN: 1
; COMPUTE_PGM_RSRC2:TGID_Y_EN: 0
; COMPUTE_PGM_RSRC2:TGID_Z_EN: 0
; COMPUTE_PGM_RSRC2:TIDIG_COMP_CNT: 0
; COMPUTE_PGM_RSRC3_GFX90A:ACCUM_OFFSET: 8
; COMPUTE_PGM_RSRC3_GFX90A:TG_SPLIT: 0
	.section	.text._Z6kernelI14subtract_rightLj256ELj32ELb0EJPiS1_jEEvDpT3_,"axG",@progbits,_Z6kernelI14subtract_rightLj256ELj32ELb0EJPiS1_jEEvDpT3_,comdat
	.protected	_Z6kernelI14subtract_rightLj256ELj32ELb0EJPiS1_jEEvDpT3_ ; -- Begin function _Z6kernelI14subtract_rightLj256ELj32ELb0EJPiS1_jEEvDpT3_
	.globl	_Z6kernelI14subtract_rightLj256ELj32ELb0EJPiS1_jEEvDpT3_
	.p2align	8
	.type	_Z6kernelI14subtract_rightLj256ELj32ELb0EJPiS1_jEEvDpT3_,@function
_Z6kernelI14subtract_rightLj256ELj32ELb0EJPiS1_jEEvDpT3_: ; @_Z6kernelI14subtract_rightLj256ELj32ELb0EJPiS1_jEEvDpT3_
; %bb.0:
	s_load_dwordx4 s[0:3], s[4:5], 0x0
	s_load_dword s7, s[4:5], 0x10
	s_lshl_b32 s4, s6, 13
	s_mov_b32 s5, 0
	s_lshl_b64 s[4:5], s[4:5], 2
	s_waitcnt lgkmcnt(0)
	s_add_u32 s0, s0, s4
	s_addc_u32 s1, s1, s5
	v_lshlrev_b32_e32 v1, 2, v0
	v_mov_b32_e32 v2, s1
	v_add_co_u32_e32 v17, vcc, s0, v1
	v_addc_co_u32_e32 v20, vcc, 0, v2, vcc
	s_movk_i32 s6, 0x1000
	v_add_co_u32_e32 v4, vcc, s6, v17
	v_addc_co_u32_e32 v5, vcc, 0, v20, vcc
	s_movk_i32 s6, 0x2000
	;; [unrolled: 3-line block ×4, first 2 shown]
	v_add_co_u32_e32 v18, vcc, s6, v17
	v_addc_co_u32_e32 v19, vcc, 0, v20, vcc
	global_load_dword v27, v1, s[0:1]
	global_load_dword v26, v1, s[0:1] offset:1024
	global_load_dword v25, v1, s[0:1] offset:2048
	;; [unrolled: 1-line block ×3, first 2 shown]
	global_load_dword v16, v[4:5], off offset:1024
	global_load_dword v15, v[4:5], off offset:2048
	;; [unrolled: 1-line block ×4, first 2 shown]
	global_load_dword v13, v[34:35], off
	global_load_dword v12, v[34:35], off offset:1024
	global_load_dword v11, v[34:35], off offset:2048
	;; [unrolled: 1-line block ×3, first 2 shown]
	global_load_dword v8, v[18:19], off offset:-4096
	global_load_dword v2, v[18:19], off
	s_movk_i32 s0, 0x5000
	v_add_co_u32_e32 v38, vcc, s0, v17
	v_addc_co_u32_e32 v39, vcc, 0, v20, vcc
	s_movk_i32 s0, 0x6000
	v_add_co_u32_e32 v28, vcc, s0, v17
	v_addc_co_u32_e32 v29, vcc, 0, v20, vcc
	v_add_co_u32_e32 v40, vcc, 0x7000, v17
	global_load_dword v23, v[18:19], off offset:1024
	global_load_dword v22, v[18:19], off offset:2048
	;; [unrolled: 1-line block ×3, first 2 shown]
	global_load_dword v9, v[28:29], off offset:-4096
	global_load_dword v7, v[28:29], off
	global_load_dword v6, v[28:29], off offset:1024
	global_load_dword v5, v[28:29], off offset:2048
	;; [unrolled: 1-line block ×3, first 2 shown]
	v_addc_co_u32_e32 v41, vcc, 0, v20, vcc
	global_load_dword v32, v[36:37], off offset:2048
	global_load_dword v31, v[36:37], off offset:3072
	;; [unrolled: 1-line block ×5, first 2 shown]
	global_load_dword v19, v[40:41], off
	global_load_dword v18, v[40:41], off offset:1024
	global_load_dword v17, v[40:41], off offset:2048
	global_load_dword v33, v[34:35], off offset:-4096
	global_load_dword v20, v[40:41], off offset:3072
	s_cmp_eq_u32 s7, 0
	s_cbranch_scc1 .LBB65_5
; %bb.1:
	s_movk_i32 s0, 0xff
	v_cmp_ne_u32_e32 vcc, s0, v0
	v_or_b32_e32 v0, 0x400, v1
	s_branch .LBB65_3
.LBB65_2:                               ;   in Loop: Header=BB65_3 Depth=1
	s_or_b64 exec, exec, s[0:1]
	v_sub_u32_e32 v35, v27, v26
	v_sub_u32_e32 v36, v26, v25
	v_sub_u32_e32 v37, v25, v24
	v_sub_u32_e32 v38, v24, v33
	v_sub_u32_e32 v39, v33, v16
	v_sub_u32_e32 v40, v16, v15
	v_sub_u32_e32 v41, v15, v14
	v_sub_u32_e32 v42, v14, v13
	v_sub_u32_e32 v43, v13, v12
	v_sub_u32_e32 v44, v12, v11
	v_sub_u32_e32 v45, v11, v10
	v_sub_u32_e32 v46, v10, v8
	v_sub_u32_e32 v47, v8, v3
	v_sub_u32_e32 v48, v3, v32
	v_sub_u32_e32 v49, v32, v31
	v_sub_u32_e32 v50, v31, v2
	v_sub_u32_e32 v51, v2, v23
	v_sub_u32_e32 v52, v23, v22
	v_sub_u32_e32 v53, v22, v21
	v_sub_u32_e32 v54, v21, v9
	v_sub_u32_e32 v55, v9, v30
	v_sub_u32_e32 v56, v30, v29
	v_sub_u32_e32 v57, v29, v28
	v_sub_u32_e32 v58, v28, v7
	v_sub_u32_e32 v59, v7, v6
	v_sub_u32_e32 v60, v6, v5
	v_sub_u32_e32 v61, v5, v4
	v_add_u32_e32 v27, v35, v27
	v_sub_u32_e32 v35, v4, v19
	v_add_u32_e32 v26, v36, v26
	v_sub_u32_e32 v36, v19, v18
	;; [unrolled: 2-line block ×4, first 2 shown]
	s_add_i32 s7, s7, -1
	v_add_u32_e32 v33, v39, v33
	v_add_u32_e32 v16, v40, v16
	;; [unrolled: 1-line block ×28, first 2 shown]
	s_cmp_lg_u32 s7, 0
	s_barrier
	s_cbranch_scc0 .LBB65_5
.LBB65_3:                               ; =>This Inner Loop Header: Depth=1
	s_waitcnt vmcnt(0)
	v_mov_b32_e32 v34, v20
	ds_write_b32 v1, v27 offset:1024
	s_waitcnt lgkmcnt(0)
	s_barrier
	s_and_saveexec_b64 s[0:1], vcc
	s_cbranch_execz .LBB65_2
; %bb.4:                                ;   in Loop: Header=BB65_3 Depth=1
	ds_read_b32 v34, v0 offset:4
	s_waitcnt lgkmcnt(0)
	v_sub_u32_e32 v34, v20, v34
	s_branch .LBB65_2
.LBB65_5:
	s_add_u32 s0, s2, s4
	s_addc_u32 s1, s3, s5
	v_mov_b32_e32 v0, s1
	v_add_co_u32_e32 v34, vcc, s0, v1
	v_addc_co_u32_e32 v35, vcc, 0, v0, vcc
	v_add_co_u32_e32 v0, vcc, 0x1000, v34
	s_waitcnt vmcnt(31)
	global_store_dword v1, v27, s[0:1]
	s_waitcnt vmcnt(31)
	global_store_dword v1, v26, s[0:1] offset:1024
	s_waitcnt vmcnt(31)
	global_store_dword v1, v25, s[0:1] offset:2048
	;; [unrolled: 2-line block ×3, first 2 shown]
	v_addc_co_u32_e32 v1, vcc, 0, v35, vcc
	s_waitcnt vmcnt(5)
	global_store_dword v[0:1], v33, off
	global_store_dword v[0:1], v16, off offset:1024
	global_store_dword v[0:1], v15, off offset:2048
	global_store_dword v[0:1], v14, off offset:3072
	v_add_co_u32_e32 v0, vcc, 0x2000, v34
	v_addc_co_u32_e32 v1, vcc, 0, v35, vcc
	global_store_dword v[0:1], v13, off
	global_store_dword v[0:1], v12, off offset:1024
	global_store_dword v[0:1], v11, off offset:2048
	global_store_dword v[0:1], v10, off offset:3072
	v_add_co_u32_e32 v0, vcc, 0x3000, v34
	v_addc_co_u32_e32 v1, vcc, 0, v35, vcc
	;; [unrolled: 6-line block ×6, first 2 shown]
	global_store_dword v[0:1], v19, off
	global_store_dword v[0:1], v18, off offset:1024
	global_store_dword v[0:1], v17, off offset:2048
	s_waitcnt vmcnt(31)
	global_store_dword v[0:1], v20, off offset:3072
	s_endpgm
	.section	.rodata,"a",@progbits
	.p2align	6, 0x0
	.amdhsa_kernel _Z6kernelI14subtract_rightLj256ELj32ELb0EJPiS1_jEEvDpT3_
		.amdhsa_group_segment_fixed_size 2048
		.amdhsa_private_segment_fixed_size 0
		.amdhsa_kernarg_size 20
		.amdhsa_user_sgpr_count 6
		.amdhsa_user_sgpr_private_segment_buffer 1
		.amdhsa_user_sgpr_dispatch_ptr 0
		.amdhsa_user_sgpr_queue_ptr 0
		.amdhsa_user_sgpr_kernarg_segment_ptr 1
		.amdhsa_user_sgpr_dispatch_id 0
		.amdhsa_user_sgpr_flat_scratch_init 0
		.amdhsa_user_sgpr_kernarg_preload_length 0
		.amdhsa_user_sgpr_kernarg_preload_offset 0
		.amdhsa_user_sgpr_private_segment_size 0
		.amdhsa_uses_dynamic_stack 0
		.amdhsa_system_sgpr_private_segment_wavefront_offset 0
		.amdhsa_system_sgpr_workgroup_id_x 1
		.amdhsa_system_sgpr_workgroup_id_y 0
		.amdhsa_system_sgpr_workgroup_id_z 0
		.amdhsa_system_sgpr_workgroup_info 0
		.amdhsa_system_vgpr_workitem_id 0
		.amdhsa_next_free_vgpr 62
		.amdhsa_next_free_sgpr 8
		.amdhsa_accum_offset 64
		.amdhsa_reserve_vcc 1
		.amdhsa_reserve_flat_scratch 0
		.amdhsa_float_round_mode_32 0
		.amdhsa_float_round_mode_16_64 0
		.amdhsa_float_denorm_mode_32 3
		.amdhsa_float_denorm_mode_16_64 3
		.amdhsa_dx10_clamp 1
		.amdhsa_ieee_mode 1
		.amdhsa_fp16_overflow 0
		.amdhsa_tg_split 0
		.amdhsa_exception_fp_ieee_invalid_op 0
		.amdhsa_exception_fp_denorm_src 0
		.amdhsa_exception_fp_ieee_div_zero 0
		.amdhsa_exception_fp_ieee_overflow 0
		.amdhsa_exception_fp_ieee_underflow 0
		.amdhsa_exception_fp_ieee_inexact 0
		.amdhsa_exception_int_div_zero 0
	.end_amdhsa_kernel
	.section	.text._Z6kernelI14subtract_rightLj256ELj32ELb0EJPiS1_jEEvDpT3_,"axG",@progbits,_Z6kernelI14subtract_rightLj256ELj32ELb0EJPiS1_jEEvDpT3_,comdat
.Lfunc_end65:
	.size	_Z6kernelI14subtract_rightLj256ELj32ELb0EJPiS1_jEEvDpT3_, .Lfunc_end65-_Z6kernelI14subtract_rightLj256ELj32ELb0EJPiS1_jEEvDpT3_
                                        ; -- End function
	.section	.AMDGPU.csdata,"",@progbits
; Kernel info:
; codeLenInByte = 1136
; NumSgprs: 12
; NumVgprs: 62
; NumAgprs: 0
; TotalNumVgprs: 62
; ScratchSize: 0
; MemoryBound: 0
; FloatMode: 240
; IeeeMode: 1
; LDSByteSize: 2048 bytes/workgroup (compile time only)
; SGPRBlocks: 1
; VGPRBlocks: 7
; NumSGPRsForWavesPerEU: 12
; NumVGPRsForWavesPerEU: 62
; AccumOffset: 64
; Occupancy: 8
; WaveLimiterHint : 1
; COMPUTE_PGM_RSRC2:SCRATCH_EN: 0
; COMPUTE_PGM_RSRC2:USER_SGPR: 6
; COMPUTE_PGM_RSRC2:TRAP_HANDLER: 0
; COMPUTE_PGM_RSRC2:TGID_X_EN: 1
; COMPUTE_PGM_RSRC2:TGID_Y_EN: 0
; COMPUTE_PGM_RSRC2:TGID_Z_EN: 0
; COMPUTE_PGM_RSRC2:TIDIG_COMP_CNT: 0
; COMPUTE_PGM_RSRC3_GFX90A:ACCUM_OFFSET: 15
; COMPUTE_PGM_RSRC3_GFX90A:TG_SPLIT: 0
	.section	.text._Z6kernelI14subtract_rightLj256ELj1ELb0EJPfS1_jEEvDpT3_,"axG",@progbits,_Z6kernelI14subtract_rightLj256ELj1ELb0EJPfS1_jEEvDpT3_,comdat
	.protected	_Z6kernelI14subtract_rightLj256ELj1ELb0EJPfS1_jEEvDpT3_ ; -- Begin function _Z6kernelI14subtract_rightLj256ELj1ELb0EJPfS1_jEEvDpT3_
	.globl	_Z6kernelI14subtract_rightLj256ELj1ELb0EJPfS1_jEEvDpT3_
	.p2align	8
	.type	_Z6kernelI14subtract_rightLj256ELj1ELb0EJPfS1_jEEvDpT3_,@function
_Z6kernelI14subtract_rightLj256ELj1ELb0EJPfS1_jEEvDpT3_: ; @_Z6kernelI14subtract_rightLj256ELj1ELb0EJPfS1_jEEvDpT3_
; %bb.0:
	s_load_dwordx4 s[0:3], s[4:5], 0x0
	s_load_dword s7, s[4:5], 0x10
	s_lshl_b32 s4, s6, 8
	s_mov_b32 s5, 0
	s_lshl_b64 s[4:5], s[4:5], 2
	s_waitcnt lgkmcnt(0)
	s_add_u32 s0, s0, s4
	s_addc_u32 s1, s1, s5
	v_lshlrev_b32_e32 v1, 2, v0
	global_load_dword v2, v1, s[0:1]
	s_cmp_eq_u32 s7, 0
	s_cbranch_scc1 .LBB66_5
; %bb.1:
	s_movk_i32 s0, 0xff
	v_cmp_ne_u32_e32 vcc, s0, v0
	v_or_b32_e32 v0, 0x400, v1
	s_branch .LBB66_3
.LBB66_2:                               ;   in Loop: Header=BB66_3 Depth=1
	s_or_b64 exec, exec, s[0:1]
	s_add_i32 s7, s7, -1
	v_add_f32_e32 v2, v2, v3
	s_cmp_lg_u32 s7, 0
	s_barrier
	s_cbranch_scc0 .LBB66_5
.LBB66_3:                               ; =>This Inner Loop Header: Depth=1
	s_waitcnt vmcnt(0)
	v_mov_b32_e32 v3, v2
	ds_write_b32 v1, v2 offset:1024
	s_waitcnt lgkmcnt(0)
	s_barrier
	s_and_saveexec_b64 s[0:1], vcc
	s_cbranch_execz .LBB66_2
; %bb.4:                                ;   in Loop: Header=BB66_3 Depth=1
	ds_read_b32 v3, v0 offset:4
	s_waitcnt lgkmcnt(0)
	v_sub_f32_e32 v3, v2, v3
	s_branch .LBB66_2
.LBB66_5:
	s_add_u32 s0, s2, s4
	s_addc_u32 s1, s3, s5
	s_waitcnt vmcnt(0)
	global_store_dword v1, v2, s[0:1]
	s_endpgm
	.section	.rodata,"a",@progbits
	.p2align	6, 0x0
	.amdhsa_kernel _Z6kernelI14subtract_rightLj256ELj1ELb0EJPfS1_jEEvDpT3_
		.amdhsa_group_segment_fixed_size 2048
		.amdhsa_private_segment_fixed_size 0
		.amdhsa_kernarg_size 20
		.amdhsa_user_sgpr_count 6
		.amdhsa_user_sgpr_private_segment_buffer 1
		.amdhsa_user_sgpr_dispatch_ptr 0
		.amdhsa_user_sgpr_queue_ptr 0
		.amdhsa_user_sgpr_kernarg_segment_ptr 1
		.amdhsa_user_sgpr_dispatch_id 0
		.amdhsa_user_sgpr_flat_scratch_init 0
		.amdhsa_user_sgpr_kernarg_preload_length 0
		.amdhsa_user_sgpr_kernarg_preload_offset 0
		.amdhsa_user_sgpr_private_segment_size 0
		.amdhsa_uses_dynamic_stack 0
		.amdhsa_system_sgpr_private_segment_wavefront_offset 0
		.amdhsa_system_sgpr_workgroup_id_x 1
		.amdhsa_system_sgpr_workgroup_id_y 0
		.amdhsa_system_sgpr_workgroup_id_z 0
		.amdhsa_system_sgpr_workgroup_info 0
		.amdhsa_system_vgpr_workitem_id 0
		.amdhsa_next_free_vgpr 4
		.amdhsa_next_free_sgpr 8
		.amdhsa_accum_offset 4
		.amdhsa_reserve_vcc 1
		.amdhsa_reserve_flat_scratch 0
		.amdhsa_float_round_mode_32 0
		.amdhsa_float_round_mode_16_64 0
		.amdhsa_float_denorm_mode_32 3
		.amdhsa_float_denorm_mode_16_64 3
		.amdhsa_dx10_clamp 1
		.amdhsa_ieee_mode 1
		.amdhsa_fp16_overflow 0
		.amdhsa_tg_split 0
		.amdhsa_exception_fp_ieee_invalid_op 0
		.amdhsa_exception_fp_denorm_src 0
		.amdhsa_exception_fp_ieee_div_zero 0
		.amdhsa_exception_fp_ieee_overflow 0
		.amdhsa_exception_fp_ieee_underflow 0
		.amdhsa_exception_fp_ieee_inexact 0
		.amdhsa_exception_int_div_zero 0
	.end_amdhsa_kernel
	.section	.text._Z6kernelI14subtract_rightLj256ELj1ELb0EJPfS1_jEEvDpT3_,"axG",@progbits,_Z6kernelI14subtract_rightLj256ELj1ELb0EJPfS1_jEEvDpT3_,comdat
.Lfunc_end66:
	.size	_Z6kernelI14subtract_rightLj256ELj1ELb0EJPfS1_jEEvDpT3_, .Lfunc_end66-_Z6kernelI14subtract_rightLj256ELj1ELb0EJPfS1_jEEvDpT3_
                                        ; -- End function
	.section	.AMDGPU.csdata,"",@progbits
; Kernel info:
; codeLenInByte = 180
; NumSgprs: 12
; NumVgprs: 4
; NumAgprs: 0
; TotalNumVgprs: 4
; ScratchSize: 0
; MemoryBound: 0
; FloatMode: 240
; IeeeMode: 1
; LDSByteSize: 2048 bytes/workgroup (compile time only)
; SGPRBlocks: 1
; VGPRBlocks: 0
; NumSGPRsForWavesPerEU: 12
; NumVGPRsForWavesPerEU: 4
; AccumOffset: 4
; Occupancy: 8
; WaveLimiterHint : 0
; COMPUTE_PGM_RSRC2:SCRATCH_EN: 0
; COMPUTE_PGM_RSRC2:USER_SGPR: 6
; COMPUTE_PGM_RSRC2:TRAP_HANDLER: 0
; COMPUTE_PGM_RSRC2:TGID_X_EN: 1
; COMPUTE_PGM_RSRC2:TGID_Y_EN: 0
; COMPUTE_PGM_RSRC2:TGID_Z_EN: 0
; COMPUTE_PGM_RSRC2:TIDIG_COMP_CNT: 0
; COMPUTE_PGM_RSRC3_GFX90A:ACCUM_OFFSET: 0
; COMPUTE_PGM_RSRC3_GFX90A:TG_SPLIT: 0
	.section	.text._Z6kernelI14subtract_rightLj256ELj3ELb0EJPfS1_jEEvDpT3_,"axG",@progbits,_Z6kernelI14subtract_rightLj256ELj3ELb0EJPfS1_jEEvDpT3_,comdat
	.protected	_Z6kernelI14subtract_rightLj256ELj3ELb0EJPfS1_jEEvDpT3_ ; -- Begin function _Z6kernelI14subtract_rightLj256ELj3ELb0EJPfS1_jEEvDpT3_
	.globl	_Z6kernelI14subtract_rightLj256ELj3ELb0EJPfS1_jEEvDpT3_
	.p2align	8
	.type	_Z6kernelI14subtract_rightLj256ELj3ELb0EJPfS1_jEEvDpT3_,@function
_Z6kernelI14subtract_rightLj256ELj3ELb0EJPfS1_jEEvDpT3_: ; @_Z6kernelI14subtract_rightLj256ELj3ELb0EJPfS1_jEEvDpT3_
; %bb.0:
	s_load_dwordx4 s[0:3], s[4:5], 0x0
	s_load_dword s7, s[4:5], 0x10
	s_mul_i32 s4, s6, 0x300
	s_mov_b32 s5, 0
	s_lshl_b64 s[4:5], s[4:5], 2
	s_waitcnt lgkmcnt(0)
	s_add_u32 s0, s0, s4
	s_addc_u32 s1, s1, s5
	v_lshlrev_b32_e32 v6, 2, v0
	global_load_dword v2, v6, s[0:1]
	global_load_dword v3, v6, s[0:1] offset:1024
	global_load_dword v1, v6, s[0:1] offset:2048
	s_cmp_eq_u32 s7, 0
	s_cbranch_scc1 .LBB67_5
; %bb.1:
	s_movk_i32 s0, 0xff
	v_cmp_ne_u32_e32 vcc, s0, v0
	v_or_b32_e32 v7, 0x400, v6
	s_branch .LBB67_3
.LBB67_2:                               ;   in Loop: Header=BB67_3 Depth=1
	s_or_b64 exec, exec, s[0:1]
	s_add_i32 s7, s7, -1
	v_add_f32_e32 v2, v2, v4
	v_add_f32_e32 v3, v3, v5
	;; [unrolled: 1-line block ×3, first 2 shown]
	s_cmp_lg_u32 s7, 0
	s_barrier
	s_cbranch_scc0 .LBB67_5
.LBB67_3:                               ; =>This Inner Loop Header: Depth=1
	s_waitcnt vmcnt(1)
	v_mov_b32_e32 v0, v3
	s_waitcnt vmcnt(0)
	v_pk_add_f32 v[4:5], v[2:3], v[0:1] neg_lo:[0,1] neg_hi:[0,1]
	v_mov_b32_e32 v0, v1
	ds_write_b32 v6, v2 offset:1024
	s_waitcnt lgkmcnt(0)
	s_barrier
	s_and_saveexec_b64 s[0:1], vcc
	s_cbranch_execz .LBB67_2
; %bb.4:                                ;   in Loop: Header=BB67_3 Depth=1
	ds_read_b32 v0, v7 offset:4
	s_waitcnt lgkmcnt(0)
	v_sub_f32_e32 v0, v1, v0
	s_branch .LBB67_2
.LBB67_5:
	s_add_u32 s0, s2, s4
	s_addc_u32 s1, s3, s5
	s_waitcnt vmcnt(2)
	global_store_dword v6, v2, s[0:1]
	s_waitcnt vmcnt(2)
	global_store_dword v6, v3, s[0:1] offset:1024
	s_waitcnt vmcnt(2)
	global_store_dword v6, v1, s[0:1] offset:2048
	s_endpgm
	.section	.rodata,"a",@progbits
	.p2align	6, 0x0
	.amdhsa_kernel _Z6kernelI14subtract_rightLj256ELj3ELb0EJPfS1_jEEvDpT3_
		.amdhsa_group_segment_fixed_size 2048
		.amdhsa_private_segment_fixed_size 0
		.amdhsa_kernarg_size 20
		.amdhsa_user_sgpr_count 6
		.amdhsa_user_sgpr_private_segment_buffer 1
		.amdhsa_user_sgpr_dispatch_ptr 0
		.amdhsa_user_sgpr_queue_ptr 0
		.amdhsa_user_sgpr_kernarg_segment_ptr 1
		.amdhsa_user_sgpr_dispatch_id 0
		.amdhsa_user_sgpr_flat_scratch_init 0
		.amdhsa_user_sgpr_kernarg_preload_length 0
		.amdhsa_user_sgpr_kernarg_preload_offset 0
		.amdhsa_user_sgpr_private_segment_size 0
		.amdhsa_uses_dynamic_stack 0
		.amdhsa_system_sgpr_private_segment_wavefront_offset 0
		.amdhsa_system_sgpr_workgroup_id_x 1
		.amdhsa_system_sgpr_workgroup_id_y 0
		.amdhsa_system_sgpr_workgroup_id_z 0
		.amdhsa_system_sgpr_workgroup_info 0
		.amdhsa_system_vgpr_workitem_id 0
		.amdhsa_next_free_vgpr 8
		.amdhsa_next_free_sgpr 8
		.amdhsa_accum_offset 8
		.amdhsa_reserve_vcc 1
		.amdhsa_reserve_flat_scratch 0
		.amdhsa_float_round_mode_32 0
		.amdhsa_float_round_mode_16_64 0
		.amdhsa_float_denorm_mode_32 3
		.amdhsa_float_denorm_mode_16_64 3
		.amdhsa_dx10_clamp 1
		.amdhsa_ieee_mode 1
		.amdhsa_fp16_overflow 0
		.amdhsa_tg_split 0
		.amdhsa_exception_fp_ieee_invalid_op 0
		.amdhsa_exception_fp_denorm_src 0
		.amdhsa_exception_fp_ieee_div_zero 0
		.amdhsa_exception_fp_ieee_overflow 0
		.amdhsa_exception_fp_ieee_underflow 0
		.amdhsa_exception_fp_ieee_inexact 0
		.amdhsa_exception_int_div_zero 0
	.end_amdhsa_kernel
	.section	.text._Z6kernelI14subtract_rightLj256ELj3ELb0EJPfS1_jEEvDpT3_,"axG",@progbits,_Z6kernelI14subtract_rightLj256ELj3ELb0EJPfS1_jEEvDpT3_,comdat
.Lfunc_end67:
	.size	_Z6kernelI14subtract_rightLj256ELj3ELb0EJPfS1_jEEvDpT3_, .Lfunc_end67-_Z6kernelI14subtract_rightLj256ELj3ELb0EJPfS1_jEEvDpT3_
                                        ; -- End function
	.section	.AMDGPU.csdata,"",@progbits
; Kernel info:
; codeLenInByte = 248
; NumSgprs: 12
; NumVgprs: 8
; NumAgprs: 0
; TotalNumVgprs: 8
; ScratchSize: 0
; MemoryBound: 0
; FloatMode: 240
; IeeeMode: 1
; LDSByteSize: 2048 bytes/workgroup (compile time only)
; SGPRBlocks: 1
; VGPRBlocks: 0
; NumSGPRsForWavesPerEU: 12
; NumVGPRsForWavesPerEU: 8
; AccumOffset: 8
; Occupancy: 8
; WaveLimiterHint : 1
; COMPUTE_PGM_RSRC2:SCRATCH_EN: 0
; COMPUTE_PGM_RSRC2:USER_SGPR: 6
; COMPUTE_PGM_RSRC2:TRAP_HANDLER: 0
; COMPUTE_PGM_RSRC2:TGID_X_EN: 1
; COMPUTE_PGM_RSRC2:TGID_Y_EN: 0
; COMPUTE_PGM_RSRC2:TGID_Z_EN: 0
; COMPUTE_PGM_RSRC2:TIDIG_COMP_CNT: 0
; COMPUTE_PGM_RSRC3_GFX90A:ACCUM_OFFSET: 1
; COMPUTE_PGM_RSRC3_GFX90A:TG_SPLIT: 0
	.section	.text._Z6kernelI14subtract_rightLj256ELj4ELb0EJPfS1_jEEvDpT3_,"axG",@progbits,_Z6kernelI14subtract_rightLj256ELj4ELb0EJPfS1_jEEvDpT3_,comdat
	.protected	_Z6kernelI14subtract_rightLj256ELj4ELb0EJPfS1_jEEvDpT3_ ; -- Begin function _Z6kernelI14subtract_rightLj256ELj4ELb0EJPfS1_jEEvDpT3_
	.globl	_Z6kernelI14subtract_rightLj256ELj4ELb0EJPfS1_jEEvDpT3_
	.p2align	8
	.type	_Z6kernelI14subtract_rightLj256ELj4ELb0EJPfS1_jEEvDpT3_,@function
_Z6kernelI14subtract_rightLj256ELj4ELb0EJPfS1_jEEvDpT3_: ; @_Z6kernelI14subtract_rightLj256ELj4ELb0EJPfS1_jEEvDpT3_
; %bb.0:
	s_load_dwordx4 s[0:3], s[4:5], 0x0
	s_load_dword s7, s[4:5], 0x10
	s_lshl_b32 s4, s6, 10
	s_mov_b32 s5, 0
	s_lshl_b64 s[4:5], s[4:5], 2
	s_waitcnt lgkmcnt(0)
	s_add_u32 s0, s0, s4
	s_addc_u32 s1, s1, s5
	v_lshlrev_b32_e32 v10, 2, v0
	global_load_dword v2, v10, s[0:1]
	global_load_dword v3, v10, s[0:1] offset:1024
	global_load_dword v5, v10, s[0:1] offset:2048
	;; [unrolled: 1-line block ×3, first 2 shown]
	s_cmp_eq_u32 s7, 0
	s_cbranch_scc1 .LBB68_5
; %bb.1:
	s_movk_i32 s0, 0xff
	v_cmp_ne_u32_e32 vcc, s0, v0
	v_or_b32_e32 v11, 0x400, v10
	s_branch .LBB68_3
.LBB68_2:                               ;   in Loop: Header=BB68_3 Depth=1
	s_or_b64 exec, exec, s[0:1]
	v_mov_b32_e32 v0, v5
	v_pk_add_f32 v[0:1], v[0:1], v[8:9]
	s_add_i32 s7, s7, -1
	v_pk_add_f32 v[2:3], v[2:3], v[6:7]
	s_cmp_lg_u32 s7, 0
	v_mov_b32_e32 v5, v0
	s_barrier
	s_cbranch_scc0 .LBB68_5
.LBB68_3:                               ; =>This Inner Loop Header: Depth=1
	s_waitcnt vmcnt(2)
	v_mov_b32_e32 v4, v3
	s_waitcnt vmcnt(1)
	v_pk_add_f32 v[6:7], v[2:3], v[4:5] neg_lo:[0,1] neg_hi:[0,1]
	s_waitcnt vmcnt(0)
	v_sub_f32_e32 v8, v5, v1
	v_mov_b32_e32 v9, v1
	ds_write_b32 v10, v2 offset:1024
	s_waitcnt lgkmcnt(0)
	s_barrier
	s_and_saveexec_b64 s[0:1], vcc
	s_cbranch_execz .LBB68_2
; %bb.4:                                ;   in Loop: Header=BB68_3 Depth=1
	ds_read_b32 v0, v11 offset:4
	s_waitcnt lgkmcnt(0)
	v_sub_f32_e32 v9, v1, v0
	s_branch .LBB68_2
.LBB68_5:
	s_add_u32 s0, s2, s4
	s_addc_u32 s1, s3, s5
	s_waitcnt vmcnt(3)
	global_store_dword v10, v2, s[0:1]
	s_waitcnt vmcnt(3)
	global_store_dword v10, v3, s[0:1] offset:1024
	s_waitcnt vmcnt(3)
	global_store_dword v10, v5, s[0:1] offset:2048
	;; [unrolled: 2-line block ×3, first 2 shown]
	s_endpgm
	.section	.rodata,"a",@progbits
	.p2align	6, 0x0
	.amdhsa_kernel _Z6kernelI14subtract_rightLj256ELj4ELb0EJPfS1_jEEvDpT3_
		.amdhsa_group_segment_fixed_size 2048
		.amdhsa_private_segment_fixed_size 0
		.amdhsa_kernarg_size 20
		.amdhsa_user_sgpr_count 6
		.amdhsa_user_sgpr_private_segment_buffer 1
		.amdhsa_user_sgpr_dispatch_ptr 0
		.amdhsa_user_sgpr_queue_ptr 0
		.amdhsa_user_sgpr_kernarg_segment_ptr 1
		.amdhsa_user_sgpr_dispatch_id 0
		.amdhsa_user_sgpr_flat_scratch_init 0
		.amdhsa_user_sgpr_kernarg_preload_length 0
		.amdhsa_user_sgpr_kernarg_preload_offset 0
		.amdhsa_user_sgpr_private_segment_size 0
		.amdhsa_uses_dynamic_stack 0
		.amdhsa_system_sgpr_private_segment_wavefront_offset 0
		.amdhsa_system_sgpr_workgroup_id_x 1
		.amdhsa_system_sgpr_workgroup_id_y 0
		.amdhsa_system_sgpr_workgroup_id_z 0
		.amdhsa_system_sgpr_workgroup_info 0
		.amdhsa_system_vgpr_workitem_id 0
		.amdhsa_next_free_vgpr 12
		.amdhsa_next_free_sgpr 8
		.amdhsa_accum_offset 12
		.amdhsa_reserve_vcc 1
		.amdhsa_reserve_flat_scratch 0
		.amdhsa_float_round_mode_32 0
		.amdhsa_float_round_mode_16_64 0
		.amdhsa_float_denorm_mode_32 3
		.amdhsa_float_denorm_mode_16_64 3
		.amdhsa_dx10_clamp 1
		.amdhsa_ieee_mode 1
		.amdhsa_fp16_overflow 0
		.amdhsa_tg_split 0
		.amdhsa_exception_fp_ieee_invalid_op 0
		.amdhsa_exception_fp_denorm_src 0
		.amdhsa_exception_fp_ieee_div_zero 0
		.amdhsa_exception_fp_ieee_overflow 0
		.amdhsa_exception_fp_ieee_underflow 0
		.amdhsa_exception_fp_ieee_inexact 0
		.amdhsa_exception_int_div_zero 0
	.end_amdhsa_kernel
	.section	.text._Z6kernelI14subtract_rightLj256ELj4ELb0EJPfS1_jEEvDpT3_,"axG",@progbits,_Z6kernelI14subtract_rightLj256ELj4ELb0EJPfS1_jEEvDpT3_,comdat
.Lfunc_end68:
	.size	_Z6kernelI14subtract_rightLj256ELj4ELb0EJPfS1_jEEvDpT3_, .Lfunc_end68-_Z6kernelI14subtract_rightLj256ELj4ELb0EJPfS1_jEEvDpT3_
                                        ; -- End function
	.section	.AMDGPU.csdata,"",@progbits
; Kernel info:
; codeLenInByte = 284
; NumSgprs: 12
; NumVgprs: 12
; NumAgprs: 0
; TotalNumVgprs: 12
; ScratchSize: 0
; MemoryBound: 0
; FloatMode: 240
; IeeeMode: 1
; LDSByteSize: 2048 bytes/workgroup (compile time only)
; SGPRBlocks: 1
; VGPRBlocks: 1
; NumSGPRsForWavesPerEU: 12
; NumVGPRsForWavesPerEU: 12
; AccumOffset: 12
; Occupancy: 8
; WaveLimiterHint : 1
; COMPUTE_PGM_RSRC2:SCRATCH_EN: 0
; COMPUTE_PGM_RSRC2:USER_SGPR: 6
; COMPUTE_PGM_RSRC2:TRAP_HANDLER: 0
; COMPUTE_PGM_RSRC2:TGID_X_EN: 1
; COMPUTE_PGM_RSRC2:TGID_Y_EN: 0
; COMPUTE_PGM_RSRC2:TGID_Z_EN: 0
; COMPUTE_PGM_RSRC2:TIDIG_COMP_CNT: 0
; COMPUTE_PGM_RSRC3_GFX90A:ACCUM_OFFSET: 2
; COMPUTE_PGM_RSRC3_GFX90A:TG_SPLIT: 0
	.section	.text._Z6kernelI14subtract_rightLj256ELj8ELb0EJPfS1_jEEvDpT3_,"axG",@progbits,_Z6kernelI14subtract_rightLj256ELj8ELb0EJPfS1_jEEvDpT3_,comdat
	.protected	_Z6kernelI14subtract_rightLj256ELj8ELb0EJPfS1_jEEvDpT3_ ; -- Begin function _Z6kernelI14subtract_rightLj256ELj8ELb0EJPfS1_jEEvDpT3_
	.globl	_Z6kernelI14subtract_rightLj256ELj8ELb0EJPfS1_jEEvDpT3_
	.p2align	8
	.type	_Z6kernelI14subtract_rightLj256ELj8ELb0EJPfS1_jEEvDpT3_,@function
_Z6kernelI14subtract_rightLj256ELj8ELb0EJPfS1_jEEvDpT3_: ; @_Z6kernelI14subtract_rightLj256ELj8ELb0EJPfS1_jEEvDpT3_
; %bb.0:
	s_load_dwordx4 s[0:3], s[4:5], 0x0
	s_load_dword s7, s[4:5], 0x10
	s_lshl_b32 s4, s6, 11
	s_mov_b32 s5, 0
	s_lshl_b64 s[4:5], s[4:5], 2
	s_waitcnt lgkmcnt(0)
	s_add_u32 s0, s0, s4
	s_addc_u32 s1, s1, s5
	v_lshlrev_b32_e32 v16, 2, v0
	v_mov_b32_e32 v1, s1
	v_add_co_u32_e32 v2, vcc, s0, v16
	v_addc_co_u32_e32 v1, vcc, 0, v1, vcc
	v_add_co_u32_e32 v14, vcc, 0x1000, v2
	v_addc_co_u32_e32 v15, vcc, 0, v1, vcc
	global_load_dword v4, v16, s[0:1]
	global_load_dword v5, v16, s[0:1] offset:1024
	global_load_dword v13, v16, s[0:1] offset:2048
	;; [unrolled: 1-line block ×3, first 2 shown]
	global_load_dword v11, v[14:15], off
	global_load_dword v3, v[14:15], off offset:1024
	global_load_dword v9, v[14:15], off offset:2048
	;; [unrolled: 1-line block ×3, first 2 shown]
	s_cmp_eq_u32 s7, 0
	s_cbranch_scc1 .LBB69_5
; %bb.1:
	s_movk_i32 s0, 0xff
	v_cmp_ne_u32_e32 vcc, s0, v0
	v_or_b32_e32 v17, 0x400, v16
	s_branch .LBB69_3
.LBB69_2:                               ;   in Loop: Header=BB69_3 Depth=1
	s_or_b64 exec, exec, s[0:1]
	v_mov_b32_e32 v12, v5
	v_mov_b32_e32 v6, v13
	;; [unrolled: 1-line block ×5, first 2 shown]
	v_pk_add_f32 v[18:19], v[4:5], v[12:13] neg_lo:[0,1] neg_hi:[0,1]
	v_pk_add_f32 v[12:13], v[6:7], v[10:11] neg_lo:[0,1] neg_hi:[0,1]
	v_pk_add_f32 v[10:11], v[2:3], v[8:9] neg_lo:[0,1] neg_hi:[0,1]
	v_sub_f32_e32 v14, v9, v1
	v_mov_b32_e32 v0, v9
	v_pk_add_f32 v[6:7], v[6:7], v[12:13]
	v_pk_add_f32 v[2:3], v[2:3], v[10:11]
	;; [unrolled: 1-line block ×3, first 2 shown]
	s_add_i32 s7, s7, -1
	v_pk_add_f32 v[4:5], v[4:5], v[18:19]
	v_mov_b32_e32 v13, v6
	v_mov_b32_e32 v11, v2
	s_cmp_lg_u32 s7, 0
	v_mov_b32_e32 v9, v0
	s_barrier
	s_cbranch_scc0 .LBB69_5
.LBB69_3:                               ; =>This Inner Loop Header: Depth=1
	s_waitcnt vmcnt(0)
	v_mov_b32_e32 v15, v1
	ds_write_b32 v16, v4 offset:1024
	s_waitcnt lgkmcnt(0)
	s_barrier
	s_and_saveexec_b64 s[0:1], vcc
	s_cbranch_execz .LBB69_2
; %bb.4:                                ;   in Loop: Header=BB69_3 Depth=1
	ds_read_b32 v0, v17 offset:4
	s_waitcnt lgkmcnt(0)
	v_sub_f32_e32 v15, v1, v0
	s_branch .LBB69_2
.LBB69_5:
	s_add_u32 s0, s2, s4
	s_addc_u32 s1, s3, s5
	v_mov_b32_e32 v0, s1
	v_add_co_u32_e32 v2, vcc, s0, v16
	v_addc_co_u32_e32 v0, vcc, 0, v0, vcc
	s_waitcnt vmcnt(7)
	global_store_dword v16, v4, s[0:1]
	s_waitcnt vmcnt(7)
	global_store_dword v16, v5, s[0:1] offset:1024
	s_waitcnt vmcnt(7)
	global_store_dword v16, v13, s[0:1] offset:2048
	;; [unrolled: 2-line block ×3, first 2 shown]
	v_add_co_u32_e32 v4, vcc, 0x1000, v2
	v_addc_co_u32_e32 v5, vcc, 0, v0, vcc
	s_waitcnt vmcnt(7)
	global_store_dword v[4:5], v11, off
	s_waitcnt vmcnt(7)
	global_store_dword v[4:5], v3, off offset:1024
	s_waitcnt vmcnt(7)
	global_store_dword v[4:5], v9, off offset:2048
	;; [unrolled: 2-line block ×3, first 2 shown]
	s_endpgm
	.section	.rodata,"a",@progbits
	.p2align	6, 0x0
	.amdhsa_kernel _Z6kernelI14subtract_rightLj256ELj8ELb0EJPfS1_jEEvDpT3_
		.amdhsa_group_segment_fixed_size 2048
		.amdhsa_private_segment_fixed_size 0
		.amdhsa_kernarg_size 20
		.amdhsa_user_sgpr_count 6
		.amdhsa_user_sgpr_private_segment_buffer 1
		.amdhsa_user_sgpr_dispatch_ptr 0
		.amdhsa_user_sgpr_queue_ptr 0
		.amdhsa_user_sgpr_kernarg_segment_ptr 1
		.amdhsa_user_sgpr_dispatch_id 0
		.amdhsa_user_sgpr_flat_scratch_init 0
		.amdhsa_user_sgpr_kernarg_preload_length 0
		.amdhsa_user_sgpr_kernarg_preload_offset 0
		.amdhsa_user_sgpr_private_segment_size 0
		.amdhsa_uses_dynamic_stack 0
		.amdhsa_system_sgpr_private_segment_wavefront_offset 0
		.amdhsa_system_sgpr_workgroup_id_x 1
		.amdhsa_system_sgpr_workgroup_id_y 0
		.amdhsa_system_sgpr_workgroup_id_z 0
		.amdhsa_system_sgpr_workgroup_info 0
		.amdhsa_system_vgpr_workitem_id 0
		.amdhsa_next_free_vgpr 20
		.amdhsa_next_free_sgpr 8
		.amdhsa_accum_offset 20
		.amdhsa_reserve_vcc 1
		.amdhsa_reserve_flat_scratch 0
		.amdhsa_float_round_mode_32 0
		.amdhsa_float_round_mode_16_64 0
		.amdhsa_float_denorm_mode_32 3
		.amdhsa_float_denorm_mode_16_64 3
		.amdhsa_dx10_clamp 1
		.amdhsa_ieee_mode 1
		.amdhsa_fp16_overflow 0
		.amdhsa_tg_split 0
		.amdhsa_exception_fp_ieee_invalid_op 0
		.amdhsa_exception_fp_denorm_src 0
		.amdhsa_exception_fp_ieee_div_zero 0
		.amdhsa_exception_fp_ieee_overflow 0
		.amdhsa_exception_fp_ieee_underflow 0
		.amdhsa_exception_fp_ieee_inexact 0
		.amdhsa_exception_int_div_zero 0
	.end_amdhsa_kernel
	.section	.text._Z6kernelI14subtract_rightLj256ELj8ELb0EJPfS1_jEEvDpT3_,"axG",@progbits,_Z6kernelI14subtract_rightLj256ELj8ELb0EJPfS1_jEEvDpT3_,comdat
.Lfunc_end69:
	.size	_Z6kernelI14subtract_rightLj256ELj8ELb0EJPfS1_jEEvDpT3_, .Lfunc_end69-_Z6kernelI14subtract_rightLj256ELj8ELb0EJPfS1_jEEvDpT3_
                                        ; -- End function
	.section	.AMDGPU.csdata,"",@progbits
; Kernel info:
; codeLenInByte = 460
; NumSgprs: 12
; NumVgprs: 20
; NumAgprs: 0
; TotalNumVgprs: 20
; ScratchSize: 0
; MemoryBound: 0
; FloatMode: 240
; IeeeMode: 1
; LDSByteSize: 2048 bytes/workgroup (compile time only)
; SGPRBlocks: 1
; VGPRBlocks: 2
; NumSGPRsForWavesPerEU: 12
; NumVGPRsForWavesPerEU: 20
; AccumOffset: 20
; Occupancy: 8
; WaveLimiterHint : 1
; COMPUTE_PGM_RSRC2:SCRATCH_EN: 0
; COMPUTE_PGM_RSRC2:USER_SGPR: 6
; COMPUTE_PGM_RSRC2:TRAP_HANDLER: 0
; COMPUTE_PGM_RSRC2:TGID_X_EN: 1
; COMPUTE_PGM_RSRC2:TGID_Y_EN: 0
; COMPUTE_PGM_RSRC2:TGID_Z_EN: 0
; COMPUTE_PGM_RSRC2:TIDIG_COMP_CNT: 0
; COMPUTE_PGM_RSRC3_GFX90A:ACCUM_OFFSET: 4
; COMPUTE_PGM_RSRC3_GFX90A:TG_SPLIT: 0
	.section	.text._Z6kernelI14subtract_rightLj256ELj16ELb0EJPfS1_jEEvDpT3_,"axG",@progbits,_Z6kernelI14subtract_rightLj256ELj16ELb0EJPfS1_jEEvDpT3_,comdat
	.protected	_Z6kernelI14subtract_rightLj256ELj16ELb0EJPfS1_jEEvDpT3_ ; -- Begin function _Z6kernelI14subtract_rightLj256ELj16ELb0EJPfS1_jEEvDpT3_
	.globl	_Z6kernelI14subtract_rightLj256ELj16ELb0EJPfS1_jEEvDpT3_
	.p2align	8
	.type	_Z6kernelI14subtract_rightLj256ELj16ELb0EJPfS1_jEEvDpT3_,@function
_Z6kernelI14subtract_rightLj256ELj16ELb0EJPfS1_jEEvDpT3_: ; @_Z6kernelI14subtract_rightLj256ELj16ELb0EJPfS1_jEEvDpT3_
; %bb.0:
	s_load_dwordx4 s[0:3], s[4:5], 0x0
	s_load_dword s7, s[4:5], 0x10
	s_lshl_b32 s4, s6, 12
	s_mov_b32 s5, 0
	s_lshl_b64 s[4:5], s[4:5], 2
	s_waitcnt lgkmcnt(0)
	s_add_u32 s0, s0, s4
	s_addc_u32 s1, s1, s5
	v_lshlrev_b32_e32 v1, 2, v0
	v_mov_b32_e32 v2, s1
	v_add_co_u32_e32 v6, vcc, s0, v1
	v_addc_co_u32_e32 v7, vcc, 0, v2, vcc
	s_movk_i32 s6, 0x1000
	v_add_co_u32_e32 v18, vcc, s6, v6
	v_addc_co_u32_e32 v19, vcc, 0, v7, vcc
	s_movk_i32 s6, 0x2000
	v_add_co_u32_e32 v20, vcc, s6, v6
	v_addc_co_u32_e32 v21, vcc, 0, v7, vcc
	v_add_co_u32_e32 v22, vcc, 0x3000, v6
	global_load_dword v3, v[20:21], off
	global_load_dword v2, v[20:21], off offset:1024
	global_load_dword v5, v[20:21], off offset:2048
	;; [unrolled: 1-line block ×3, first 2 shown]
	v_addc_co_u32_e32 v23, vcc, 0, v7, vcc
	global_load_dword v14, v1, s[0:1]
	global_load_dword v15, v1, s[0:1] offset:1024
	global_load_dword v17, v1, s[0:1] offset:2048
	;; [unrolled: 1-line block ×3, first 2 shown]
	global_load_dword v12, v[18:19], off offset:1024
	global_load_dword v11, v[18:19], off offset:2048
	;; [unrolled: 1-line block ×3, first 2 shown]
	global_load_dword v7, v[22:23], off
	global_load_dword v6, v[22:23], off offset:1024
	global_load_dword v8, v[22:23], off offset:2048
	global_load_dword v13, v[20:21], off offset:-4096
	global_load_dword v9, v[22:23], off offset:3072
	s_cmp_eq_u32 s7, 0
	s_cbranch_scc1 .LBB70_5
; %bb.1:
	s_movk_i32 s0, 0xff
	v_cmp_ne_u32_e32 vcc, s0, v0
	v_or_b32_e32 v0, 0x400, v1
	s_branch .LBB70_3
.LBB70_2:                               ;   in Loop: Header=BB70_3 Depth=1
	s_or_b64 exec, exec, s[0:1]
	v_mov_b32_e32 v34, v9
	v_mov_b32_e32 v20, v15
	;; [unrolled: 1-line block ×15, first 2 shown]
	v_pk_add_f32 v[34:35], v[8:9], v[34:35] neg_lo:[0,1] neg_hi:[0,1]
	v_pk_add_f32 v[20:21], v[14:15], v[20:21] neg_lo:[0,1] neg_hi:[0,1]
	;; [unrolled: 1-line block ×8, first 2 shown]
	v_mov_b32_e32 v35, v18
	s_add_i32 s7, s7, -1
	v_pk_add_f32 v[14:15], v[14:15], v[20:21]
	v_pk_add_f32 v[16:17], v[16:17], v[22:23]
	;; [unrolled: 1-line block ×8, first 2 shown]
	s_cmp_lg_u32 s7, 0
	s_barrier
	s_cbranch_scc0 .LBB70_5
.LBB70_3:                               ; =>This Inner Loop Header: Depth=1
	s_waitcnt vmcnt(0)
	v_mov_b32_e32 v18, v9
	ds_write_b32 v1, v14 offset:1024
	s_waitcnt lgkmcnt(0)
	s_barrier
	s_and_saveexec_b64 s[0:1], vcc
	s_cbranch_execz .LBB70_2
; %bb.4:                                ;   in Loop: Header=BB70_3 Depth=1
	ds_read_b32 v18, v0 offset:4
	s_waitcnt lgkmcnt(0)
	v_sub_f32_e32 v18, v9, v18
	s_branch .LBB70_2
.LBB70_5:
	s_add_u32 s0, s2, s4
	s_addc_u32 s1, s3, s5
	v_mov_b32_e32 v0, s1
	v_add_co_u32_e32 v18, vcc, s0, v1
	v_addc_co_u32_e32 v19, vcc, 0, v0, vcc
	v_add_co_u32_e32 v0, vcc, 0x1000, v18
	s_waitcnt vmcnt(11)
	global_store_dword v1, v14, s[0:1]
	s_waitcnt vmcnt(11)
	global_store_dword v1, v15, s[0:1] offset:1024
	s_waitcnt vmcnt(11)
	global_store_dword v1, v17, s[0:1] offset:2048
	;; [unrolled: 2-line block ×3, first 2 shown]
	v_addc_co_u32_e32 v1, vcc, 0, v19, vcc
	s_waitcnt vmcnt(5)
	global_store_dword v[0:1], v13, off
	global_store_dword v[0:1], v12, off offset:1024
	global_store_dword v[0:1], v11, off offset:2048
	;; [unrolled: 1-line block ×3, first 2 shown]
	v_add_co_u32_e32 v0, vcc, 0x2000, v18
	v_addc_co_u32_e32 v1, vcc, 0, v19, vcc
	global_store_dword v[0:1], v3, off
	global_store_dword v[0:1], v2, off offset:1024
	global_store_dword v[0:1], v5, off offset:2048
	global_store_dword v[0:1], v4, off offset:3072
	v_add_co_u32_e32 v0, vcc, 0x3000, v18
	v_addc_co_u32_e32 v1, vcc, 0, v19, vcc
	global_store_dword v[0:1], v7, off
	global_store_dword v[0:1], v6, off offset:1024
	global_store_dword v[0:1], v8, off offset:2048
	s_waitcnt vmcnt(15)
	global_store_dword v[0:1], v9, off offset:3072
	s_endpgm
	.section	.rodata,"a",@progbits
	.p2align	6, 0x0
	.amdhsa_kernel _Z6kernelI14subtract_rightLj256ELj16ELb0EJPfS1_jEEvDpT3_
		.amdhsa_group_segment_fixed_size 2048
		.amdhsa_private_segment_fixed_size 0
		.amdhsa_kernarg_size 20
		.amdhsa_user_sgpr_count 6
		.amdhsa_user_sgpr_private_segment_buffer 1
		.amdhsa_user_sgpr_dispatch_ptr 0
		.amdhsa_user_sgpr_queue_ptr 0
		.amdhsa_user_sgpr_kernarg_segment_ptr 1
		.amdhsa_user_sgpr_dispatch_id 0
		.amdhsa_user_sgpr_flat_scratch_init 0
		.amdhsa_user_sgpr_kernarg_preload_length 0
		.amdhsa_user_sgpr_kernarg_preload_offset 0
		.amdhsa_user_sgpr_private_segment_size 0
		.amdhsa_uses_dynamic_stack 0
		.amdhsa_system_sgpr_private_segment_wavefront_offset 0
		.amdhsa_system_sgpr_workgroup_id_x 1
		.amdhsa_system_sgpr_workgroup_id_y 0
		.amdhsa_system_sgpr_workgroup_id_z 0
		.amdhsa_system_sgpr_workgroup_info 0
		.amdhsa_system_vgpr_workitem_id 0
		.amdhsa_next_free_vgpr 36
		.amdhsa_next_free_sgpr 8
		.amdhsa_accum_offset 36
		.amdhsa_reserve_vcc 1
		.amdhsa_reserve_flat_scratch 0
		.amdhsa_float_round_mode_32 0
		.amdhsa_float_round_mode_16_64 0
		.amdhsa_float_denorm_mode_32 3
		.amdhsa_float_denorm_mode_16_64 3
		.amdhsa_dx10_clamp 1
		.amdhsa_ieee_mode 1
		.amdhsa_fp16_overflow 0
		.amdhsa_tg_split 0
		.amdhsa_exception_fp_ieee_invalid_op 0
		.amdhsa_exception_fp_denorm_src 0
		.amdhsa_exception_fp_ieee_div_zero 0
		.amdhsa_exception_fp_ieee_overflow 0
		.amdhsa_exception_fp_ieee_underflow 0
		.amdhsa_exception_fp_ieee_inexact 0
		.amdhsa_exception_int_div_zero 0
	.end_amdhsa_kernel
	.section	.text._Z6kernelI14subtract_rightLj256ELj16ELb0EJPfS1_jEEvDpT3_,"axG",@progbits,_Z6kernelI14subtract_rightLj256ELj16ELb0EJPfS1_jEEvDpT3_,comdat
.Lfunc_end70:
	.size	_Z6kernelI14subtract_rightLj256ELj16ELb0EJPfS1_jEEvDpT3_, .Lfunc_end70-_Z6kernelI14subtract_rightLj256ELj16ELb0EJPfS1_jEEvDpT3_
                                        ; -- End function
	.section	.AMDGPU.csdata,"",@progbits
; Kernel info:
; codeLenInByte = 724
; NumSgprs: 12
; NumVgprs: 36
; NumAgprs: 0
; TotalNumVgprs: 36
; ScratchSize: 0
; MemoryBound: 0
; FloatMode: 240
; IeeeMode: 1
; LDSByteSize: 2048 bytes/workgroup (compile time only)
; SGPRBlocks: 1
; VGPRBlocks: 4
; NumSGPRsForWavesPerEU: 12
; NumVGPRsForWavesPerEU: 36
; AccumOffset: 36
; Occupancy: 8
; WaveLimiterHint : 1
; COMPUTE_PGM_RSRC2:SCRATCH_EN: 0
; COMPUTE_PGM_RSRC2:USER_SGPR: 6
; COMPUTE_PGM_RSRC2:TRAP_HANDLER: 0
; COMPUTE_PGM_RSRC2:TGID_X_EN: 1
; COMPUTE_PGM_RSRC2:TGID_Y_EN: 0
; COMPUTE_PGM_RSRC2:TGID_Z_EN: 0
; COMPUTE_PGM_RSRC2:TIDIG_COMP_CNT: 0
; COMPUTE_PGM_RSRC3_GFX90A:ACCUM_OFFSET: 8
; COMPUTE_PGM_RSRC3_GFX90A:TG_SPLIT: 0
	.section	.text._Z6kernelI14subtract_rightLj256ELj32ELb0EJPfS1_jEEvDpT3_,"axG",@progbits,_Z6kernelI14subtract_rightLj256ELj32ELb0EJPfS1_jEEvDpT3_,comdat
	.protected	_Z6kernelI14subtract_rightLj256ELj32ELb0EJPfS1_jEEvDpT3_ ; -- Begin function _Z6kernelI14subtract_rightLj256ELj32ELb0EJPfS1_jEEvDpT3_
	.globl	_Z6kernelI14subtract_rightLj256ELj32ELb0EJPfS1_jEEvDpT3_
	.p2align	8
	.type	_Z6kernelI14subtract_rightLj256ELj32ELb0EJPfS1_jEEvDpT3_,@function
_Z6kernelI14subtract_rightLj256ELj32ELb0EJPfS1_jEEvDpT3_: ; @_Z6kernelI14subtract_rightLj256ELj32ELb0EJPfS1_jEEvDpT3_
; %bb.0:
	s_load_dwordx4 s[0:3], s[4:5], 0x0
	s_load_dword s7, s[4:5], 0x10
	s_lshl_b32 s4, s6, 13
	s_mov_b32 s5, 0
	s_lshl_b64 s[4:5], s[4:5], 2
	s_waitcnt lgkmcnt(0)
	s_add_u32 s0, s0, s4
	s_addc_u32 s1, s1, s5
	v_lshlrev_b32_e32 v1, 2, v0
	v_mov_b32_e32 v2, s1
	v_add_co_u32_e32 v14, vcc, s0, v1
	v_addc_co_u32_e32 v19, vcc, 0, v2, vcc
	s_movk_i32 s6, 0x1000
	v_add_co_u32_e32 v6, vcc, s6, v14
	v_addc_co_u32_e32 v7, vcc, 0, v19, vcc
	s_movk_i32 s6, 0x2000
	;; [unrolled: 3-line block ×4, first 2 shown]
	v_add_co_u32_e32 v20, vcc, s6, v14
	v_addc_co_u32_e32 v21, vcc, 0, v19, vcc
	global_load_dword v26, v1, s[0:1]
	global_load_dword v27, v1, s[0:1] offset:1024
	global_load_dword v29, v1, s[0:1] offset:2048
	;; [unrolled: 1-line block ×3, first 2 shown]
	global_load_dword v18, v[6:7], off offset:1024
	global_load_dword v17, v[6:7], off offset:2048
	;; [unrolled: 1-line block ×4, first 2 shown]
	global_load_dword v11, v[34:35], off
	global_load_dword v10, v[34:35], off offset:1024
	global_load_dword v13, v[34:35], off offset:2048
	;; [unrolled: 1-line block ×3, first 2 shown]
	global_load_dword v5, v[20:21], off offset:-4096
	global_load_dword v3, v[20:21], off
	s_movk_i32 s0, 0x5000
	v_add_co_u32_e32 v38, vcc, s0, v14
	v_addc_co_u32_e32 v39, vcc, 0, v19, vcc
	s_movk_i32 s0, 0x6000
	v_add_co_u32_e32 v22, vcc, s0, v14
	v_addc_co_u32_e32 v23, vcc, 0, v19, vcc
	v_add_co_u32_e32 v40, vcc, 0x7000, v14
	global_load_dword v2, v[20:21], off offset:1024
	global_load_dword v25, v[20:21], off offset:2048
	;; [unrolled: 1-line block ×3, first 2 shown]
	global_load_dword v15, v[22:23], off offset:-4096
	global_load_dword v7, v[22:23], off
	global_load_dword v6, v[22:23], off offset:1024
	global_load_dword v9, v[22:23], off offset:2048
	;; [unrolled: 1-line block ×3, first 2 shown]
	v_addc_co_u32_e32 v41, vcc, 0, v19, vcc
	global_load_dword v33, v[36:37], off offset:2048
	global_load_dword v32, v[36:37], off offset:3072
	;; [unrolled: 1-line block ×5, first 2 shown]
	global_load_dword v21, v[40:41], off
	global_load_dword v20, v[40:41], off offset:1024
	global_load_dword v22, v[40:41], off offset:2048
	global_load_dword v19, v[34:35], off offset:-4096
	global_load_dword v23, v[40:41], off offset:3072
	s_cmp_eq_u32 s7, 0
	s_cbranch_scc1 .LBB71_5
; %bb.1:
	s_movk_i32 s0, 0xff
	v_cmp_ne_u32_e32 vcc, s0, v0
	v_or_b32_e32 v0, 0x400, v1
	s_branch .LBB71_3
.LBB71_2:                               ;   in Loop: Header=BB71_3 Depth=1
	s_or_b64 exec, exec, s[0:1]
	v_mov_b32_e32 v40, v17
	v_mov_b32_e32 v41, v18
	v_mov_b32_e32 v36, v27
	v_mov_b32_e32 v37, v29
	v_mov_b32_e32 v38, v19
	v_mov_b32_e32 v39, v28
	v_pk_add_f32 v[40:41], v[18:19], v[40:41] neg_lo:[0,1] neg_hi:[0,1]
	v_pk_add_f32 v[36:37], v[26:27], v[36:37] neg_lo:[0,1] neg_hi:[0,1]
	;; [unrolled: 1-line block ×3, first 2 shown]
	v_pk_add_f32 v[18:19], v[18:19], v[40:41]
	v_mov_b32_e32 v40, v23
	v_mov_b32_e32 v42, v11
	v_mov_b32_e32 v43, v16
	v_mov_b32_e32 v44, v13
	v_mov_b32_e32 v45, v10
	v_mov_b32_e32 v46, v5
	v_mov_b32_e32 v47, v12
	v_mov_b32_e32 v48, v33
	v_mov_b32_e32 v49, v4
	v_mov_b32_e32 v50, v3
	v_mov_b32_e32 v51, v32
	v_mov_b32_e32 v52, v25
	v_mov_b32_e32 v53, v2
	v_mov_b32_e32 v54, v15
	v_mov_b32_e32 v55, v24
	v_mov_b32_e32 v56, v31
	v_mov_b32_e32 v57, v14
	v_mov_b32_e32 v58, v7
	v_mov_b32_e32 v59, v30
	v_mov_b32_e32 v60, v9
	v_mov_b32_e32 v61, v6
	v_pk_add_f32 v[26:27], v[26:27], v[36:37]
	v_mov_b32_e32 v36, v21
	v_mov_b32_e32 v37, v8
	v_pk_add_f32 v[28:29], v[28:29], v[38:39]
	v_mov_b32_e32 v38, v22
	v_mov_b32_e32 v39, v20
	v_pk_add_f32 v[40:41], v[22:23], v[40:41] neg_lo:[0,1] neg_hi:[0,1]
	v_pk_add_f32 v[42:43], v[16:17], v[42:43] neg_lo:[0,1] neg_hi:[0,1]
	;; [unrolled: 1-line block ×13, first 2 shown]
	v_mov_b32_e32 v41, v34
	s_add_i32 s7, s7, -1
	v_pk_add_f32 v[16:17], v[16:17], v[42:43]
	v_pk_add_f32 v[10:11], v[10:11], v[44:45]
	;; [unrolled: 1-line block ×13, first 2 shown]
	s_cmp_lg_u32 s7, 0
	s_barrier
	s_cbranch_scc0 .LBB71_5
.LBB71_3:                               ; =>This Inner Loop Header: Depth=1
	s_waitcnt vmcnt(0)
	v_mov_b32_e32 v34, v23
	ds_write_b32 v1, v26 offset:1024
	s_waitcnt lgkmcnt(0)
	s_barrier
	s_and_saveexec_b64 s[0:1], vcc
	s_cbranch_execz .LBB71_2
; %bb.4:                                ;   in Loop: Header=BB71_3 Depth=1
	ds_read_b32 v34, v0 offset:4
	s_waitcnt lgkmcnt(0)
	v_sub_f32_e32 v34, v23, v34
	s_branch .LBB71_2
.LBB71_5:
	s_add_u32 s0, s2, s4
	s_addc_u32 s1, s3, s5
	v_mov_b32_e32 v0, s1
	v_add_co_u32_e32 v34, vcc, s0, v1
	v_addc_co_u32_e32 v35, vcc, 0, v0, vcc
	v_add_co_u32_e32 v0, vcc, 0x1000, v34
	s_waitcnt vmcnt(31)
	global_store_dword v1, v26, s[0:1]
	s_waitcnt vmcnt(31)
	global_store_dword v1, v27, s[0:1] offset:1024
	s_waitcnt vmcnt(31)
	global_store_dword v1, v29, s[0:1] offset:2048
	;; [unrolled: 2-line block ×3, first 2 shown]
	v_addc_co_u32_e32 v1, vcc, 0, v35, vcc
	s_waitcnt vmcnt(5)
	global_store_dword v[0:1], v19, off
	global_store_dword v[0:1], v18, off offset:1024
	global_store_dword v[0:1], v17, off offset:2048
	global_store_dword v[0:1], v16, off offset:3072
	v_add_co_u32_e32 v0, vcc, 0x2000, v34
	v_addc_co_u32_e32 v1, vcc, 0, v35, vcc
	global_store_dword v[0:1], v11, off
	global_store_dword v[0:1], v10, off offset:1024
	global_store_dword v[0:1], v13, off offset:2048
	global_store_dword v[0:1], v12, off offset:3072
	v_add_co_u32_e32 v0, vcc, 0x3000, v34
	v_addc_co_u32_e32 v1, vcc, 0, v35, vcc
	;; [unrolled: 6-line block ×6, first 2 shown]
	global_store_dword v[0:1], v21, off
	global_store_dword v[0:1], v20, off offset:1024
	global_store_dword v[0:1], v22, off offset:2048
	s_waitcnt vmcnt(31)
	global_store_dword v[0:1], v23, off offset:3072
	s_endpgm
	.section	.rodata,"a",@progbits
	.p2align	6, 0x0
	.amdhsa_kernel _Z6kernelI14subtract_rightLj256ELj32ELb0EJPfS1_jEEvDpT3_
		.amdhsa_group_segment_fixed_size 2048
		.amdhsa_private_segment_fixed_size 0
		.amdhsa_kernarg_size 20
		.amdhsa_user_sgpr_count 6
		.amdhsa_user_sgpr_private_segment_buffer 1
		.amdhsa_user_sgpr_dispatch_ptr 0
		.amdhsa_user_sgpr_queue_ptr 0
		.amdhsa_user_sgpr_kernarg_segment_ptr 1
		.amdhsa_user_sgpr_dispatch_id 0
		.amdhsa_user_sgpr_flat_scratch_init 0
		.amdhsa_user_sgpr_kernarg_preload_length 0
		.amdhsa_user_sgpr_kernarg_preload_offset 0
		.amdhsa_user_sgpr_private_segment_size 0
		.amdhsa_uses_dynamic_stack 0
		.amdhsa_system_sgpr_private_segment_wavefront_offset 0
		.amdhsa_system_sgpr_workgroup_id_x 1
		.amdhsa_system_sgpr_workgroup_id_y 0
		.amdhsa_system_sgpr_workgroup_id_z 0
		.amdhsa_system_sgpr_workgroup_info 0
		.amdhsa_system_vgpr_workitem_id 0
		.amdhsa_next_free_vgpr 62
		.amdhsa_next_free_sgpr 8
		.amdhsa_accum_offset 64
		.amdhsa_reserve_vcc 1
		.amdhsa_reserve_flat_scratch 0
		.amdhsa_float_round_mode_32 0
		.amdhsa_float_round_mode_16_64 0
		.amdhsa_float_denorm_mode_32 3
		.amdhsa_float_denorm_mode_16_64 3
		.amdhsa_dx10_clamp 1
		.amdhsa_ieee_mode 1
		.amdhsa_fp16_overflow 0
		.amdhsa_tg_split 0
		.amdhsa_exception_fp_ieee_invalid_op 0
		.amdhsa_exception_fp_denorm_src 0
		.amdhsa_exception_fp_ieee_div_zero 0
		.amdhsa_exception_fp_ieee_overflow 0
		.amdhsa_exception_fp_ieee_underflow 0
		.amdhsa_exception_fp_ieee_inexact 0
		.amdhsa_exception_int_div_zero 0
	.end_amdhsa_kernel
	.section	.text._Z6kernelI14subtract_rightLj256ELj32ELb0EJPfS1_jEEvDpT3_,"axG",@progbits,_Z6kernelI14subtract_rightLj256ELj32ELb0EJPfS1_jEEvDpT3_,comdat
.Lfunc_end71:
	.size	_Z6kernelI14subtract_rightLj256ELj32ELb0EJPfS1_jEEvDpT3_, .Lfunc_end71-_Z6kernelI14subtract_rightLj256ELj32ELb0EJPfS1_jEEvDpT3_
                                        ; -- End function
	.section	.AMDGPU.csdata,"",@progbits
; Kernel info:
; codeLenInByte = 1268
; NumSgprs: 12
; NumVgprs: 62
; NumAgprs: 0
; TotalNumVgprs: 62
; ScratchSize: 0
; MemoryBound: 0
; FloatMode: 240
; IeeeMode: 1
; LDSByteSize: 2048 bytes/workgroup (compile time only)
; SGPRBlocks: 1
; VGPRBlocks: 7
; NumSGPRsForWavesPerEU: 12
; NumVGPRsForWavesPerEU: 62
; AccumOffset: 64
; Occupancy: 8
; WaveLimiterHint : 1
; COMPUTE_PGM_RSRC2:SCRATCH_EN: 0
; COMPUTE_PGM_RSRC2:USER_SGPR: 6
; COMPUTE_PGM_RSRC2:TRAP_HANDLER: 0
; COMPUTE_PGM_RSRC2:TGID_X_EN: 1
; COMPUTE_PGM_RSRC2:TGID_Y_EN: 0
; COMPUTE_PGM_RSRC2:TGID_Z_EN: 0
; COMPUTE_PGM_RSRC2:TIDIG_COMP_CNT: 0
; COMPUTE_PGM_RSRC3_GFX90A:ACCUM_OFFSET: 15
; COMPUTE_PGM_RSRC3_GFX90A:TG_SPLIT: 0
	.section	.text._Z6kernelI14subtract_rightLj256ELj1ELb0EJPaS1_jEEvDpT3_,"axG",@progbits,_Z6kernelI14subtract_rightLj256ELj1ELb0EJPaS1_jEEvDpT3_,comdat
	.protected	_Z6kernelI14subtract_rightLj256ELj1ELb0EJPaS1_jEEvDpT3_ ; -- Begin function _Z6kernelI14subtract_rightLj256ELj1ELb0EJPaS1_jEEvDpT3_
	.globl	_Z6kernelI14subtract_rightLj256ELj1ELb0EJPaS1_jEEvDpT3_
	.p2align	8
	.type	_Z6kernelI14subtract_rightLj256ELj1ELb0EJPaS1_jEEvDpT3_,@function
_Z6kernelI14subtract_rightLj256ELj1ELb0EJPaS1_jEEvDpT3_: ; @_Z6kernelI14subtract_rightLj256ELj1ELb0EJPaS1_jEEvDpT3_
; %bb.0:
	s_load_dwordx4 s[0:3], s[4:5], 0x0
	s_load_dword s7, s[4:5], 0x10
	s_lshl_b32 s4, s6, 8
	s_waitcnt lgkmcnt(0)
	s_add_u32 s0, s0, s4
	s_addc_u32 s1, s1, 0
	global_load_ubyte v1, v0, s[0:1]
	s_cmp_eq_u32 s7, 0
	s_cbranch_scc1 .LBB72_5
; %bb.1:
	s_movk_i32 s0, 0xff
	v_cmp_ne_u32_e32 vcc, s0, v0
	s_branch .LBB72_3
.LBB72_2:                               ;   in Loop: Header=BB72_3 Depth=1
	s_or_b64 exec, exec, s[0:1]
	s_add_i32 s7, s7, -1
	v_add_u16_e32 v1, v2, v1
	s_cmp_lg_u32 s7, 0
	s_barrier
	s_cbranch_scc0 .LBB72_5
.LBB72_3:                               ; =>This Inner Loop Header: Depth=1
	s_waitcnt vmcnt(0)
	v_mov_b32_e32 v2, v1
	ds_write_b8 v0, v1 offset:256
	s_waitcnt lgkmcnt(0)
	s_barrier
	s_and_saveexec_b64 s[0:1], vcc
	s_cbranch_execz .LBB72_2
; %bb.4:                                ;   in Loop: Header=BB72_3 Depth=1
	ds_read_u8 v2, v0 offset:257
	s_waitcnt lgkmcnt(0)
	v_sub_u16_e32 v2, v1, v2
	s_branch .LBB72_2
.LBB72_5:
	s_add_u32 s0, s2, s4
	s_addc_u32 s1, s3, 0
	v_mov_b32_e32 v3, s1
	v_add_co_u32_e32 v2, vcc, s0, v0
	v_addc_co_u32_e32 v3, vcc, 0, v3, vcc
	s_waitcnt vmcnt(0)
	global_store_byte v[2:3], v1, off
	s_endpgm
	.section	.rodata,"a",@progbits
	.p2align	6, 0x0
	.amdhsa_kernel _Z6kernelI14subtract_rightLj256ELj1ELb0EJPaS1_jEEvDpT3_
		.amdhsa_group_segment_fixed_size 512
		.amdhsa_private_segment_fixed_size 0
		.amdhsa_kernarg_size 20
		.amdhsa_user_sgpr_count 6
		.amdhsa_user_sgpr_private_segment_buffer 1
		.amdhsa_user_sgpr_dispatch_ptr 0
		.amdhsa_user_sgpr_queue_ptr 0
		.amdhsa_user_sgpr_kernarg_segment_ptr 1
		.amdhsa_user_sgpr_dispatch_id 0
		.amdhsa_user_sgpr_flat_scratch_init 0
		.amdhsa_user_sgpr_kernarg_preload_length 0
		.amdhsa_user_sgpr_kernarg_preload_offset 0
		.amdhsa_user_sgpr_private_segment_size 0
		.amdhsa_uses_dynamic_stack 0
		.amdhsa_system_sgpr_private_segment_wavefront_offset 0
		.amdhsa_system_sgpr_workgroup_id_x 1
		.amdhsa_system_sgpr_workgroup_id_y 0
		.amdhsa_system_sgpr_workgroup_id_z 0
		.amdhsa_system_sgpr_workgroup_info 0
		.amdhsa_system_vgpr_workitem_id 0
		.amdhsa_next_free_vgpr 4
		.amdhsa_next_free_sgpr 8
		.amdhsa_accum_offset 4
		.amdhsa_reserve_vcc 1
		.amdhsa_reserve_flat_scratch 0
		.amdhsa_float_round_mode_32 0
		.amdhsa_float_round_mode_16_64 0
		.amdhsa_float_denorm_mode_32 3
		.amdhsa_float_denorm_mode_16_64 3
		.amdhsa_dx10_clamp 1
		.amdhsa_ieee_mode 1
		.amdhsa_fp16_overflow 0
		.amdhsa_tg_split 0
		.amdhsa_exception_fp_ieee_invalid_op 0
		.amdhsa_exception_fp_denorm_src 0
		.amdhsa_exception_fp_ieee_div_zero 0
		.amdhsa_exception_fp_ieee_overflow 0
		.amdhsa_exception_fp_ieee_underflow 0
		.amdhsa_exception_fp_ieee_inexact 0
		.amdhsa_exception_int_div_zero 0
	.end_amdhsa_kernel
	.section	.text._Z6kernelI14subtract_rightLj256ELj1ELb0EJPaS1_jEEvDpT3_,"axG",@progbits,_Z6kernelI14subtract_rightLj256ELj1ELb0EJPaS1_jEEvDpT3_,comdat
.Lfunc_end72:
	.size	_Z6kernelI14subtract_rightLj256ELj1ELb0EJPaS1_jEEvDpT3_, .Lfunc_end72-_Z6kernelI14subtract_rightLj256ELj1ELb0EJPaS1_jEEvDpT3_
                                        ; -- End function
	.section	.AMDGPU.csdata,"",@progbits
; Kernel info:
; codeLenInByte = 172
; NumSgprs: 12
; NumVgprs: 4
; NumAgprs: 0
; TotalNumVgprs: 4
; ScratchSize: 0
; MemoryBound: 0
; FloatMode: 240
; IeeeMode: 1
; LDSByteSize: 512 bytes/workgroup (compile time only)
; SGPRBlocks: 1
; VGPRBlocks: 0
; NumSGPRsForWavesPerEU: 12
; NumVGPRsForWavesPerEU: 4
; AccumOffset: 4
; Occupancy: 8
; WaveLimiterHint : 0
; COMPUTE_PGM_RSRC2:SCRATCH_EN: 0
; COMPUTE_PGM_RSRC2:USER_SGPR: 6
; COMPUTE_PGM_RSRC2:TRAP_HANDLER: 0
; COMPUTE_PGM_RSRC2:TGID_X_EN: 1
; COMPUTE_PGM_RSRC2:TGID_Y_EN: 0
; COMPUTE_PGM_RSRC2:TGID_Z_EN: 0
; COMPUTE_PGM_RSRC2:TIDIG_COMP_CNT: 0
; COMPUTE_PGM_RSRC3_GFX90A:ACCUM_OFFSET: 0
; COMPUTE_PGM_RSRC3_GFX90A:TG_SPLIT: 0
	.section	.text._Z6kernelI14subtract_rightLj256ELj3ELb0EJPaS1_jEEvDpT3_,"axG",@progbits,_Z6kernelI14subtract_rightLj256ELj3ELb0EJPaS1_jEEvDpT3_,comdat
	.protected	_Z6kernelI14subtract_rightLj256ELj3ELb0EJPaS1_jEEvDpT3_ ; -- Begin function _Z6kernelI14subtract_rightLj256ELj3ELb0EJPaS1_jEEvDpT3_
	.globl	_Z6kernelI14subtract_rightLj256ELj3ELb0EJPaS1_jEEvDpT3_
	.p2align	8
	.type	_Z6kernelI14subtract_rightLj256ELj3ELb0EJPaS1_jEEvDpT3_,@function
_Z6kernelI14subtract_rightLj256ELj3ELb0EJPaS1_jEEvDpT3_: ; @_Z6kernelI14subtract_rightLj256ELj3ELb0EJPaS1_jEEvDpT3_
; %bb.0:
	s_load_dwordx4 s[0:3], s[4:5], 0x0
	s_load_dword s7, s[4:5], 0x10
	s_mul_i32 s4, s6, 0x300
	s_waitcnt lgkmcnt(0)
	s_add_u32 s0, s0, s4
	s_addc_u32 s1, s1, 0
	global_load_ubyte v1, v0, s[0:1] offset:256
	global_load_ubyte v2, v0, s[0:1]
	global_load_ubyte v3, v0, s[0:1] offset:512
	s_cmp_eq_u32 s7, 0
	s_waitcnt vmcnt(2)
	v_lshlrev_b16_e32 v1, 8, v1
	s_waitcnt vmcnt(1)
	v_or_b32_e32 v1, v2, v1
	v_and_b32_e32 v1, 0xffff, v1
	s_waitcnt vmcnt(0)
	v_lshl_or_b32 v1, v3, 16, v1
	s_cbranch_scc1 .LBB73_5
; %bb.1:
	s_movk_i32 s0, 0xff
	v_cmp_ne_u32_e32 vcc, s0, v0
	s_mov_b32 s5, 0xff0000
	v_mov_b32_e32 v2, 8
	s_branch .LBB73_3
.LBB73_2:                               ;   in Loop: Header=BB73_3 Depth=1
	s_or_b64 exec, exec, s[0:1]
	v_lshrrev_b32_e32 v5, 16, v4
	v_add_u16_e32 v6, v4, v1
	v_lshrrev_b32_e32 v4, 8, v4
	v_add_u16_sdwa v1, v5, v1 dst_sel:DWORD dst_unused:UNUSED_PAD src0_sel:DWORD src1_sel:WORD_1
	v_add_u16_sdwa v3, v4, v3 dst_sel:BYTE_1 dst_unused:UNUSED_PAD src0_sel:DWORD src1_sel:DWORD
	v_and_b32_e32 v1, 0xff, v1
	v_or_b32_sdwa v3, v6, v3 dst_sel:DWORD dst_unused:UNUSED_PAD src0_sel:BYTE_0 src1_sel:DWORD
	v_lshlrev_b32_e32 v1, 16, v1
	s_add_i32 s7, s7, -1
	v_or_b32_sdwa v1, v3, v1 dst_sel:DWORD dst_unused:UNUSED_PAD src0_sel:WORD_0 src1_sel:DWORD
	s_cmp_lg_u32 s7, 0
	s_barrier
	s_cbranch_scc0 .LBB73_5
.LBB73_3:                               ; =>This Inner Loop Header: Depth=1
	v_lshrrev_b32_e32 v3, 8, v1
	v_sub_u16_sdwa v5, v3, v1 dst_sel:BYTE_1 dst_unused:UNUSED_PAD src0_sel:DWORD src1_sel:WORD_1
	v_sub_u16_e32 v4, v1, v3
	v_lshrrev_b32_sdwa v5, v2, v5 dst_sel:BYTE_1 dst_unused:UNUSED_PAD src0_sel:DWORD src1_sel:DWORD
	v_or_b32_sdwa v4, v4, v5 dst_sel:DWORD dst_unused:UNUSED_PAD src0_sel:BYTE_0 src1_sel:DWORD
	v_and_b32_e32 v4, 0xffff, v4
	v_and_or_b32 v4, v1, s5, v4
	ds_write_b8 v0, v1 offset:256
	s_waitcnt lgkmcnt(0)
	s_barrier
	s_and_saveexec_b64 s[0:1], vcc
	s_cbranch_execz .LBB73_2
; %bb.4:                                ;   in Loop: Header=BB73_3 Depth=1
	ds_read_u8 v5, v0 offset:257
	v_lshrrev_b32_sdwa v6, v2, v4 dst_sel:BYTE_1 dst_unused:UNUSED_PAD src0_sel:DWORD src1_sel:DWORD
	v_or_b32_sdwa v4, v4, v6 dst_sel:DWORD dst_unused:UNUSED_PAD src0_sel:BYTE_0 src1_sel:DWORD
	s_waitcnt lgkmcnt(0)
	v_sub_u16_sdwa v5, v1, v5 dst_sel:DWORD dst_unused:UNUSED_PAD src0_sel:WORD_1 src1_sel:DWORD
	v_and_b32_e32 v5, 0xff, v5
	v_lshlrev_b32_e32 v5, 16, v5
	v_or_b32_sdwa v4, v4, v5 dst_sel:DWORD dst_unused:UNUSED_PAD src0_sel:WORD_0 src1_sel:DWORD
	s_branch .LBB73_2
.LBB73_5:
	s_add_u32 s0, s2, s4
	s_addc_u32 s1, s3, 0
	v_mov_b32_e32 v3, s1
	v_add_co_u32_e32 v2, vcc, s0, v0
	v_addc_co_u32_e32 v3, vcc, 0, v3, vcc
	v_lshrrev_b32_e32 v0, 8, v1
	global_store_byte v[2:3], v1, off
	global_store_byte v[2:3], v0, off offset:256
	global_store_byte_d16_hi v[2:3], v1, off offset:512
	s_endpgm
	.section	.rodata,"a",@progbits
	.p2align	6, 0x0
	.amdhsa_kernel _Z6kernelI14subtract_rightLj256ELj3ELb0EJPaS1_jEEvDpT3_
		.amdhsa_group_segment_fixed_size 512
		.amdhsa_private_segment_fixed_size 0
		.amdhsa_kernarg_size 20
		.amdhsa_user_sgpr_count 6
		.amdhsa_user_sgpr_private_segment_buffer 1
		.amdhsa_user_sgpr_dispatch_ptr 0
		.amdhsa_user_sgpr_queue_ptr 0
		.amdhsa_user_sgpr_kernarg_segment_ptr 1
		.amdhsa_user_sgpr_dispatch_id 0
		.amdhsa_user_sgpr_flat_scratch_init 0
		.amdhsa_user_sgpr_kernarg_preload_length 0
		.amdhsa_user_sgpr_kernarg_preload_offset 0
		.amdhsa_user_sgpr_private_segment_size 0
		.amdhsa_uses_dynamic_stack 0
		.amdhsa_system_sgpr_private_segment_wavefront_offset 0
		.amdhsa_system_sgpr_workgroup_id_x 1
		.amdhsa_system_sgpr_workgroup_id_y 0
		.amdhsa_system_sgpr_workgroup_id_z 0
		.amdhsa_system_sgpr_workgroup_info 0
		.amdhsa_system_vgpr_workitem_id 0
		.amdhsa_next_free_vgpr 7
		.amdhsa_next_free_sgpr 8
		.amdhsa_accum_offset 8
		.amdhsa_reserve_vcc 1
		.amdhsa_reserve_flat_scratch 0
		.amdhsa_float_round_mode_32 0
		.amdhsa_float_round_mode_16_64 0
		.amdhsa_float_denorm_mode_32 3
		.amdhsa_float_denorm_mode_16_64 3
		.amdhsa_dx10_clamp 1
		.amdhsa_ieee_mode 1
		.amdhsa_fp16_overflow 0
		.amdhsa_tg_split 0
		.amdhsa_exception_fp_ieee_invalid_op 0
		.amdhsa_exception_fp_denorm_src 0
		.amdhsa_exception_fp_ieee_div_zero 0
		.amdhsa_exception_fp_ieee_overflow 0
		.amdhsa_exception_fp_ieee_underflow 0
		.amdhsa_exception_fp_ieee_inexact 0
		.amdhsa_exception_int_div_zero 0
	.end_amdhsa_kernel
	.section	.text._Z6kernelI14subtract_rightLj256ELj3ELb0EJPaS1_jEEvDpT3_,"axG",@progbits,_Z6kernelI14subtract_rightLj256ELj3ELb0EJPaS1_jEEvDpT3_,comdat
.Lfunc_end73:
	.size	_Z6kernelI14subtract_rightLj256ELj3ELb0EJPaS1_jEEvDpT3_, .Lfunc_end73-_Z6kernelI14subtract_rightLj256ELj3ELb0EJPaS1_jEEvDpT3_
                                        ; -- End function
	.section	.AMDGPU.csdata,"",@progbits
; Kernel info:
; codeLenInByte = 388
; NumSgprs: 12
; NumVgprs: 7
; NumAgprs: 0
; TotalNumVgprs: 7
; ScratchSize: 0
; MemoryBound: 0
; FloatMode: 240
; IeeeMode: 1
; LDSByteSize: 512 bytes/workgroup (compile time only)
; SGPRBlocks: 1
; VGPRBlocks: 0
; NumSGPRsForWavesPerEU: 12
; NumVGPRsForWavesPerEU: 7
; AccumOffset: 8
; Occupancy: 8
; WaveLimiterHint : 1
; COMPUTE_PGM_RSRC2:SCRATCH_EN: 0
; COMPUTE_PGM_RSRC2:USER_SGPR: 6
; COMPUTE_PGM_RSRC2:TRAP_HANDLER: 0
; COMPUTE_PGM_RSRC2:TGID_X_EN: 1
; COMPUTE_PGM_RSRC2:TGID_Y_EN: 0
; COMPUTE_PGM_RSRC2:TGID_Z_EN: 0
; COMPUTE_PGM_RSRC2:TIDIG_COMP_CNT: 0
; COMPUTE_PGM_RSRC3_GFX90A:ACCUM_OFFSET: 1
; COMPUTE_PGM_RSRC3_GFX90A:TG_SPLIT: 0
	.section	.text._Z6kernelI14subtract_rightLj256ELj4ELb0EJPaS1_jEEvDpT3_,"axG",@progbits,_Z6kernelI14subtract_rightLj256ELj4ELb0EJPaS1_jEEvDpT3_,comdat
	.protected	_Z6kernelI14subtract_rightLj256ELj4ELb0EJPaS1_jEEvDpT3_ ; -- Begin function _Z6kernelI14subtract_rightLj256ELj4ELb0EJPaS1_jEEvDpT3_
	.globl	_Z6kernelI14subtract_rightLj256ELj4ELb0EJPaS1_jEEvDpT3_
	.p2align	8
	.type	_Z6kernelI14subtract_rightLj256ELj4ELb0EJPaS1_jEEvDpT3_,@function
_Z6kernelI14subtract_rightLj256ELj4ELb0EJPaS1_jEEvDpT3_: ; @_Z6kernelI14subtract_rightLj256ELj4ELb0EJPaS1_jEEvDpT3_
; %bb.0:
	s_load_dwordx4 s[0:3], s[4:5], 0x0
	s_load_dword s7, s[4:5], 0x10
	s_lshl_b32 s4, s6, 10
	s_mov_b32 s5, 0xffff
	s_waitcnt lgkmcnt(0)
	s_add_u32 s0, s0, s4
	s_addc_u32 s1, s1, 0
	global_load_ubyte v1, v0, s[0:1] offset:256
	global_load_ubyte v2, v0, s[0:1] offset:768
	global_load_ubyte v3, v0, s[0:1]
	global_load_ubyte v4, v0, s[0:1] offset:512
	s_cmp_eq_u32 s7, 0
	s_waitcnt vmcnt(3)
	v_lshlrev_b16_e32 v1, 8, v1
	s_waitcnt vmcnt(2)
	v_lshlrev_b16_e32 v2, 8, v2
	s_waitcnt vmcnt(1)
	v_or_b32_e32 v1, v3, v1
	s_waitcnt vmcnt(0)
	v_or_b32_sdwa v2, v4, v2 dst_sel:WORD_1 dst_unused:UNUSED_PAD src0_sel:DWORD src1_sel:DWORD
	v_or_b32_sdwa v1, v1, v2 dst_sel:DWORD dst_unused:UNUSED_PAD src0_sel:WORD_0 src1_sel:DWORD
	s_cbranch_scc1 .LBB74_5
; %bb.1:
	s_movk_i32 s6, 0xff
	v_cmp_ne_u32_e32 vcc, s6, v0
	s_movk_i32 s8, 0xff00
	s_branch .LBB74_3
.LBB74_2:                               ;   in Loop: Header=BB74_3 Depth=1
	s_or_b64 exec, exec, s[0:1]
	v_lshrrev_b32_e32 v4, 16, v3
	v_add_u16_e32 v5, v3, v1
	v_lshrrev_b32_e32 v6, 8, v3
	v_lshrrev_b32_e32 v3, 24, v3
	v_add_u16_sdwa v4, v4, v1 dst_sel:DWORD dst_unused:UNUSED_PAD src0_sel:DWORD src1_sel:WORD_1
	v_add_u16_sdwa v1, v3, v1 dst_sel:DWORD dst_unused:UNUSED_PAD src0_sel:DWORD src1_sel:BYTE_3
	v_add_u16_sdwa v2, v6, v2 dst_sel:BYTE_1 dst_unused:UNUSED_PAD src0_sel:DWORD src1_sel:DWORD
	v_lshlrev_b16_e32 v1, 8, v1
	v_or_b32_sdwa v2, v5, v2 dst_sel:DWORD dst_unused:UNUSED_PAD src0_sel:BYTE_0 src1_sel:DWORD
	v_or_b32_sdwa v1, v4, v1 dst_sel:WORD_1 dst_unused:UNUSED_PAD src0_sel:BYTE_0 src1_sel:DWORD
	s_add_i32 s7, s7, -1
	v_or_b32_sdwa v1, v2, v1 dst_sel:DWORD dst_unused:UNUSED_PAD src0_sel:WORD_0 src1_sel:DWORD
	s_cmp_lg_u32 s7, 0
	s_barrier
	s_cbranch_scc0 .LBB74_5
.LBB74_3:                               ; =>This Inner Loop Header: Depth=1
	v_and_b32_sdwa v2, v1, s8 dst_sel:DWORD dst_unused:UNUSED_PAD src0_sel:WORD_1 src1_sel:DWORD
	v_sub_u16_sdwa v3, v1, v1 dst_sel:DWORD dst_unused:UNUSED_PAD src0_sel:WORD_1 src1_sel:BYTE_3
	v_or_b32_sdwa v3, v3, v2 dst_sel:WORD_1 dst_unused:UNUSED_PAD src0_sel:BYTE_0 src1_sel:DWORD
	v_lshrrev_b32_e32 v2, 8, v1
	v_sub_u16_e32 v4, v1, v2
	v_sub_u16_sdwa v5, v2, v1 dst_sel:BYTE_1 dst_unused:UNUSED_PAD src0_sel:DWORD src1_sel:WORD_1
	v_or_b32_sdwa v4, v4, v5 dst_sel:DWORD dst_unused:UNUSED_PAD src0_sel:BYTE_0 src1_sel:DWORD
	v_or_b32_sdwa v3, v4, v3 dst_sel:DWORD dst_unused:UNUSED_PAD src0_sel:WORD_0 src1_sel:DWORD
	ds_write_b8 v0, v1 offset:256
	s_waitcnt lgkmcnt(0)
	s_barrier
	s_and_saveexec_b64 s[0:1], vcc
	s_cbranch_execz .LBB74_2
; %bb.4:                                ;   in Loop: Header=BB74_3 Depth=1
	ds_read_u8 v4, v0 offset:257
	v_and_b32_sdwa v5, v3, s6 dst_sel:DWORD dst_unused:UNUSED_PAD src0_sel:WORD_1 src1_sel:DWORD
	s_waitcnt lgkmcnt(0)
	v_sub_u16_sdwa v4, v1, v4 dst_sel:DWORD dst_unused:UNUSED_PAD src0_sel:BYTE_3 src1_sel:DWORD
	v_lshlrev_b16_e32 v4, 8, v4
	v_or_b32_sdwa v4, v5, v4 dst_sel:WORD_1 dst_unused:UNUSED_PAD src0_sel:DWORD src1_sel:DWORD
	v_and_or_b32 v3, v3, s5, v4
	s_branch .LBB74_2
.LBB74_5:
	s_add_u32 s0, s2, s4
	s_addc_u32 s1, s3, 0
	v_mov_b32_e32 v3, s1
	v_add_co_u32_e32 v2, vcc, s0, v0
	v_addc_co_u32_e32 v3, vcc, 0, v3, vcc
	v_lshrrev_b32_e32 v0, 8, v1
	global_store_byte v[2:3], v1, off
	global_store_byte v[2:3], v0, off offset:256
	global_store_byte_d16_hi v[2:3], v1, off offset:512
	v_lshrrev_b32_e32 v0, 24, v1
	global_store_byte v[2:3], v0, off offset:768
	s_endpgm
	.section	.rodata,"a",@progbits
	.p2align	6, 0x0
	.amdhsa_kernel _Z6kernelI14subtract_rightLj256ELj4ELb0EJPaS1_jEEvDpT3_
		.amdhsa_group_segment_fixed_size 512
		.amdhsa_private_segment_fixed_size 0
		.amdhsa_kernarg_size 20
		.amdhsa_user_sgpr_count 6
		.amdhsa_user_sgpr_private_segment_buffer 1
		.amdhsa_user_sgpr_dispatch_ptr 0
		.amdhsa_user_sgpr_queue_ptr 0
		.amdhsa_user_sgpr_kernarg_segment_ptr 1
		.amdhsa_user_sgpr_dispatch_id 0
		.amdhsa_user_sgpr_flat_scratch_init 0
		.amdhsa_user_sgpr_kernarg_preload_length 0
		.amdhsa_user_sgpr_kernarg_preload_offset 0
		.amdhsa_user_sgpr_private_segment_size 0
		.amdhsa_uses_dynamic_stack 0
		.amdhsa_system_sgpr_private_segment_wavefront_offset 0
		.amdhsa_system_sgpr_workgroup_id_x 1
		.amdhsa_system_sgpr_workgroup_id_y 0
		.amdhsa_system_sgpr_workgroup_id_z 0
		.amdhsa_system_sgpr_workgroup_info 0
		.amdhsa_system_vgpr_workitem_id 0
		.amdhsa_next_free_vgpr 7
		.amdhsa_next_free_sgpr 9
		.amdhsa_accum_offset 8
		.amdhsa_reserve_vcc 1
		.amdhsa_reserve_flat_scratch 0
		.amdhsa_float_round_mode_32 0
		.amdhsa_float_round_mode_16_64 0
		.amdhsa_float_denorm_mode_32 3
		.amdhsa_float_denorm_mode_16_64 3
		.amdhsa_dx10_clamp 1
		.amdhsa_ieee_mode 1
		.amdhsa_fp16_overflow 0
		.amdhsa_tg_split 0
		.amdhsa_exception_fp_ieee_invalid_op 0
		.amdhsa_exception_fp_denorm_src 0
		.amdhsa_exception_fp_ieee_div_zero 0
		.amdhsa_exception_fp_ieee_overflow 0
		.amdhsa_exception_fp_ieee_underflow 0
		.amdhsa_exception_fp_ieee_inexact 0
		.amdhsa_exception_int_div_zero 0
	.end_amdhsa_kernel
	.section	.text._Z6kernelI14subtract_rightLj256ELj4ELb0EJPaS1_jEEvDpT3_,"axG",@progbits,_Z6kernelI14subtract_rightLj256ELj4ELb0EJPaS1_jEEvDpT3_,comdat
.Lfunc_end74:
	.size	_Z6kernelI14subtract_rightLj256ELj4ELb0EJPaS1_jEEvDpT3_, .Lfunc_end74-_Z6kernelI14subtract_rightLj256ELj4ELb0EJPaS1_jEEvDpT3_
                                        ; -- End function
	.section	.AMDGPU.csdata,"",@progbits
; Kernel info:
; codeLenInByte = 424
; NumSgprs: 13
; NumVgprs: 7
; NumAgprs: 0
; TotalNumVgprs: 7
; ScratchSize: 0
; MemoryBound: 0
; FloatMode: 240
; IeeeMode: 1
; LDSByteSize: 512 bytes/workgroup (compile time only)
; SGPRBlocks: 1
; VGPRBlocks: 0
; NumSGPRsForWavesPerEU: 13
; NumVGPRsForWavesPerEU: 7
; AccumOffset: 8
; Occupancy: 8
; WaveLimiterHint : 1
; COMPUTE_PGM_RSRC2:SCRATCH_EN: 0
; COMPUTE_PGM_RSRC2:USER_SGPR: 6
; COMPUTE_PGM_RSRC2:TRAP_HANDLER: 0
; COMPUTE_PGM_RSRC2:TGID_X_EN: 1
; COMPUTE_PGM_RSRC2:TGID_Y_EN: 0
; COMPUTE_PGM_RSRC2:TGID_Z_EN: 0
; COMPUTE_PGM_RSRC2:TIDIG_COMP_CNT: 0
; COMPUTE_PGM_RSRC3_GFX90A:ACCUM_OFFSET: 1
; COMPUTE_PGM_RSRC3_GFX90A:TG_SPLIT: 0
	.section	.text._Z6kernelI14subtract_rightLj256ELj8ELb0EJPaS1_jEEvDpT3_,"axG",@progbits,_Z6kernelI14subtract_rightLj256ELj8ELb0EJPaS1_jEEvDpT3_,comdat
	.protected	_Z6kernelI14subtract_rightLj256ELj8ELb0EJPaS1_jEEvDpT3_ ; -- Begin function _Z6kernelI14subtract_rightLj256ELj8ELb0EJPaS1_jEEvDpT3_
	.globl	_Z6kernelI14subtract_rightLj256ELj8ELb0EJPaS1_jEEvDpT3_
	.p2align	8
	.type	_Z6kernelI14subtract_rightLj256ELj8ELb0EJPaS1_jEEvDpT3_,@function
_Z6kernelI14subtract_rightLj256ELj8ELb0EJPaS1_jEEvDpT3_: ; @_Z6kernelI14subtract_rightLj256ELj8ELb0EJPaS1_jEEvDpT3_
; %bb.0:
	s_load_dwordx4 s[0:3], s[4:5], 0x0
	s_load_dword s7, s[4:5], 0x10
	s_lshl_b32 s4, s6, 11
	s_waitcnt lgkmcnt(0)
	s_add_u32 s0, s0, s4
	s_addc_u32 s1, s1, 0
	global_load_ubyte v1, v0, s[0:1] offset:256
	global_load_ubyte v2, v0, s[0:1] offset:768
	;; [unrolled: 1-line block ×4, first 2 shown]
	global_load_ubyte v5, v0, s[0:1]
	global_load_ubyte v6, v0, s[0:1] offset:512
	global_load_ubyte v7, v0, s[0:1] offset:1024
	;; [unrolled: 1-line block ×3, first 2 shown]
	s_cmp_eq_u32 s7, 0
	s_waitcnt vmcnt(7)
	v_lshlrev_b16_e32 v1, 8, v1
	s_waitcnt vmcnt(6)
	v_lshlrev_b16_e32 v2, 8, v2
	;; [unrolled: 2-line block ×4, first 2 shown]
	s_waitcnt vmcnt(3)
	v_or_b32_e32 v1, v5, v1
	s_waitcnt vmcnt(2)
	v_or_b32_sdwa v2, v6, v2 dst_sel:WORD_1 dst_unused:UNUSED_PAD src0_sel:DWORD src1_sel:DWORD
	s_waitcnt vmcnt(1)
	v_or_b32_e32 v3, v7, v3
	s_waitcnt vmcnt(0)
	v_or_b32_sdwa v4, v8, v4 dst_sel:WORD_1 dst_unused:UNUSED_PAD src0_sel:DWORD src1_sel:DWORD
	v_or_b32_sdwa v2, v1, v2 dst_sel:DWORD dst_unused:UNUSED_PAD src0_sel:WORD_0 src1_sel:DWORD
	v_or_b32_sdwa v3, v3, v4 dst_sel:DWORD dst_unused:UNUSED_PAD src0_sel:WORD_0 src1_sel:DWORD
	s_cbranch_scc1 .LBB75_5
; %bb.1:
	s_movk_i32 s5, 0xff
	v_cmp_ne_u32_e32 vcc, s5, v0
	s_movk_i32 s6, 0xff00
	s_mov_b32 s8, 0x3020104
	v_mov_b32_e32 v1, 8
	s_branch .LBB75_3
.LBB75_2:                               ;   in Loop: Header=BB75_3 Depth=1
	s_or_b64 exec, exec, s[0:1]
	v_lshrrev_b32_e32 v8, 24, v12
	v_lshrrev_b32_e32 v9, 16, v12
	;; [unrolled: 1-line block ×4, first 2 shown]
	v_add_u16_e32 v11, v5, v2
	v_add_u16_sdwa v7, v13, v7 dst_sel:BYTE_1 dst_unused:UNUSED_PAD src0_sel:DWORD src1_sel:DWORD
	v_lshrrev_b32_e32 v13, 16, v5
	v_add_u16_sdwa v4, v5, v4 dst_sel:BYTE_1 dst_unused:UNUSED_PAD src0_sel:BYTE_3 src1_sel:DWORD
	v_add_u16_e32 v5, v12, v3
	v_add_u16_sdwa v9, v9, v3 dst_sel:DWORD dst_unused:UNUSED_PAD src0_sel:DWORD src1_sel:WORD_1
	v_add_u16_sdwa v3, v8, v3 dst_sel:DWORD dst_unused:UNUSED_PAD src0_sel:DWORD src1_sel:BYTE_3
	v_add_u16_sdwa v2, v13, v2 dst_sel:DWORD dst_unused:UNUSED_PAD src0_sel:DWORD src1_sel:WORD_1
	v_add_u16_sdwa v6, v10, v6 dst_sel:BYTE_1 dst_unused:UNUSED_PAD src0_sel:DWORD src1_sel:DWORD
	v_lshlrev_b16_e32 v3, 8, v3
	v_or_b32_sdwa v7, v11, v7 dst_sel:DWORD dst_unused:UNUSED_PAD src0_sel:BYTE_0 src1_sel:DWORD
	v_or_b32_sdwa v2, v2, v4 dst_sel:WORD_1 dst_unused:UNUSED_PAD src0_sel:BYTE_0 src1_sel:DWORD
	v_or_b32_sdwa v4, v5, v6 dst_sel:DWORD dst_unused:UNUSED_PAD src0_sel:BYTE_0 src1_sel:DWORD
	v_or_b32_sdwa v3, v9, v3 dst_sel:WORD_1 dst_unused:UNUSED_PAD src0_sel:BYTE_0 src1_sel:DWORD
	s_add_i32 s7, s7, -1
	v_or_b32_sdwa v2, v7, v2 dst_sel:DWORD dst_unused:UNUSED_PAD src0_sel:WORD_0 src1_sel:DWORD
	s_cmp_lg_u32 s7, 0
	v_or_b32_sdwa v3, v4, v3 dst_sel:DWORD dst_unused:UNUSED_PAD src0_sel:WORD_0 src1_sel:DWORD
	s_barrier
	s_cbranch_scc0 .LBB75_5
.LBB75_3:                               ; =>This Inner Loop Header: Depth=1
	v_and_b32_sdwa v4, v3, s6 dst_sel:DWORD dst_unused:UNUSED_PAD src0_sel:WORD_1 src1_sel:DWORD
	v_sub_u16_sdwa v5, v3, v3 dst_sel:DWORD dst_unused:UNUSED_PAD src0_sel:WORD_1 src1_sel:BYTE_3
	v_lshrrev_b32_e32 v7, 8, v2
	v_or_b32_sdwa v8, v5, v4 dst_sel:DWORD dst_unused:UNUSED_PAD src0_sel:BYTE_0 src1_sel:DWORD
	v_lshrrev_b32_e32 v6, 8, v3
	v_sub_u16_e32 v9, v2, v7
	v_sub_u16_sdwa v10, v7, v2 dst_sel:BYTE_1 dst_unused:UNUSED_PAD src0_sel:DWORD src1_sel:WORD_1
	v_lshrrev_b64 v[4:5], 24, v[2:3]
	v_sub_u16_sdwa v5, v2, v4 dst_sel:DWORD dst_unused:UNUSED_PAD src0_sel:WORD_1 src1_sel:DWORD
	v_sub_u16_sdwa v12, v4, v3 dst_sel:BYTE_1 dst_unused:UNUSED_PAD src0_sel:DWORD src1_sel:DWORD
	v_sub_u16_e32 v13, v3, v6
	v_sub_u16_sdwa v14, v6, v3 dst_sel:BYTE_1 dst_unused:UNUSED_PAD src0_sel:DWORD src1_sel:WORD_1
	v_or_b32_sdwa v9, v9, v10 dst_sel:DWORD dst_unused:UNUSED_PAD src0_sel:BYTE_0 src1_sel:DWORD
	v_or_b32_sdwa v11, v5, v12 dst_sel:DWORD dst_unused:UNUSED_PAD src0_sel:BYTE_0 src1_sel:DWORD
	v_or_b32_sdwa v10, v13, v14 dst_sel:DWORD dst_unused:UNUSED_PAD src0_sel:BYTE_0 src1_sel:DWORD
	v_lshrrev_b32_sdwa v5, v1, v9 dst_sel:BYTE_1 dst_unused:UNUSED_PAD src0_sel:DWORD src1_sel:WORD_0
	v_lshrrev_b32_sdwa v12, v1, v12 dst_sel:BYTE_1 dst_unused:UNUSED_PAD src0_sel:DWORD src1_sel:DWORD
	v_lshrrev_b32_sdwa v13, v1, v10 dst_sel:BYTE_1 dst_unused:UNUSED_PAD src0_sel:DWORD src1_sel:WORD_0
	v_or_b32_sdwa v5, v9, v5 dst_sel:DWORD dst_unused:UNUSED_PAD src0_sel:BYTE_0 src1_sel:DWORD
	v_or_b32_sdwa v12, v11, v12 dst_sel:WORD_1 dst_unused:UNUSED_PAD src0_sel:BYTE_0 src1_sel:DWORD
	v_or_b32_sdwa v5, v5, v12 dst_sel:DWORD dst_unused:UNUSED_PAD src0_sel:WORD_0 src1_sel:DWORD
	v_or_b32_sdwa v12, v10, v13 dst_sel:DWORD dst_unused:UNUSED_PAD src0_sel:BYTE_0 src1_sel:DWORD
	v_lshlrev_b16_sdwa v13, v1, v3 dst_sel:DWORD dst_unused:UNUSED_PAD src0_sel:DWORD src1_sel:BYTE_3
	v_or_b32_sdwa v13, v8, v13 dst_sel:WORD_1 dst_unused:UNUSED_PAD src0_sel:BYTE_0 src1_sel:DWORD
	v_or_b32_sdwa v12, v12, v13 dst_sel:DWORD dst_unused:UNUSED_PAD src0_sel:WORD_0 src1_sel:DWORD
	ds_write_b8 v0, v2 offset:256
	s_waitcnt lgkmcnt(0)
	s_barrier
	s_and_saveexec_b64 s[0:1], vcc
	s_cbranch_execz .LBB75_2
; %bb.4:                                ;   in Loop: Header=BB75_3 Depth=1
	ds_read_u8 v5, v0 offset:257
	v_lshlrev_b32_e32 v11, 16, v11
	v_lshlrev_b32_e32 v8, 16, v8
	v_or_b32_sdwa v9, v9, v11 dst_sel:DWORD dst_unused:UNUSED_PAD src0_sel:WORD_0 src1_sel:DWORD
	v_or_b32_sdwa v8, v10, v8 dst_sel:DWORD dst_unused:UNUSED_PAD src0_sel:WORD_0 src1_sel:DWORD
	s_waitcnt lgkmcnt(0)
	v_sub_u16_sdwa v10, v3, v5 dst_sel:DWORD dst_unused:UNUSED_PAD src0_sel:BYTE_3 src1_sel:DWORD
	v_perm_b32 v5, v9, v9, s8
	v_lshrrev_b32_sdwa v9, v1, v8 dst_sel:BYTE_1 dst_unused:UNUSED_PAD src0_sel:DWORD src1_sel:DWORD
	v_or_b32_sdwa v9, v8, v9 dst_sel:DWORD dst_unused:UNUSED_PAD src0_sel:BYTE_0 src1_sel:DWORD
	v_lshlrev_b16_e32 v10, 8, v10
	v_and_b32_sdwa v8, v8, s5 dst_sel:DWORD dst_unused:UNUSED_PAD src0_sel:WORD_1 src1_sel:DWORD
	v_or_b32_sdwa v8, v8, v10 dst_sel:WORD_1 dst_unused:UNUSED_PAD src0_sel:DWORD src1_sel:DWORD
	v_or_b32_sdwa v12, v9, v8 dst_sel:DWORD dst_unused:UNUSED_PAD src0_sel:WORD_0 src1_sel:DWORD
	s_branch .LBB75_2
.LBB75_5:
	s_add_u32 s0, s2, s4
	s_addc_u32 s1, s3, 0
	v_mov_b32_e32 v1, s1
	v_add_co_u32_e32 v0, vcc, s0, v0
	v_addc_co_u32_e32 v1, vcc, 0, v1, vcc
	v_lshrrev_b32_e32 v4, 8, v2
	global_store_byte v[0:1], v2, off
	global_store_byte v[0:1], v4, off offset:256
	global_store_byte_d16_hi v[0:1], v2, off offset:512
	v_lshrrev_b32_e32 v2, 24, v2
	global_store_byte v[0:1], v2, off offset:768
	global_store_byte v[0:1], v3, off offset:1024
	v_lshrrev_b32_e32 v2, 8, v3
	global_store_byte v[0:1], v2, off offset:1280
	global_store_byte_d16_hi v[0:1], v3, off offset:1536
	v_lshrrev_b32_e32 v2, 24, v3
	global_store_byte v[0:1], v2, off offset:1792
	s_endpgm
	.section	.rodata,"a",@progbits
	.p2align	6, 0x0
	.amdhsa_kernel _Z6kernelI14subtract_rightLj256ELj8ELb0EJPaS1_jEEvDpT3_
		.amdhsa_group_segment_fixed_size 512
		.amdhsa_private_segment_fixed_size 0
		.amdhsa_kernarg_size 20
		.amdhsa_user_sgpr_count 6
		.amdhsa_user_sgpr_private_segment_buffer 1
		.amdhsa_user_sgpr_dispatch_ptr 0
		.amdhsa_user_sgpr_queue_ptr 0
		.amdhsa_user_sgpr_kernarg_segment_ptr 1
		.amdhsa_user_sgpr_dispatch_id 0
		.amdhsa_user_sgpr_flat_scratch_init 0
		.amdhsa_user_sgpr_kernarg_preload_length 0
		.amdhsa_user_sgpr_kernarg_preload_offset 0
		.amdhsa_user_sgpr_private_segment_size 0
		.amdhsa_uses_dynamic_stack 0
		.amdhsa_system_sgpr_private_segment_wavefront_offset 0
		.amdhsa_system_sgpr_workgroup_id_x 1
		.amdhsa_system_sgpr_workgroup_id_y 0
		.amdhsa_system_sgpr_workgroup_id_z 0
		.amdhsa_system_sgpr_workgroup_info 0
		.amdhsa_system_vgpr_workitem_id 0
		.amdhsa_next_free_vgpr 15
		.amdhsa_next_free_sgpr 9
		.amdhsa_accum_offset 16
		.amdhsa_reserve_vcc 1
		.amdhsa_reserve_flat_scratch 0
		.amdhsa_float_round_mode_32 0
		.amdhsa_float_round_mode_16_64 0
		.amdhsa_float_denorm_mode_32 3
		.amdhsa_float_denorm_mode_16_64 3
		.amdhsa_dx10_clamp 1
		.amdhsa_ieee_mode 1
		.amdhsa_fp16_overflow 0
		.amdhsa_tg_split 0
		.amdhsa_exception_fp_ieee_invalid_op 0
		.amdhsa_exception_fp_denorm_src 0
		.amdhsa_exception_fp_ieee_div_zero 0
		.amdhsa_exception_fp_ieee_overflow 0
		.amdhsa_exception_fp_ieee_underflow 0
		.amdhsa_exception_fp_ieee_inexact 0
		.amdhsa_exception_int_div_zero 0
	.end_amdhsa_kernel
	.section	.text._Z6kernelI14subtract_rightLj256ELj8ELb0EJPaS1_jEEvDpT3_,"axG",@progbits,_Z6kernelI14subtract_rightLj256ELj8ELb0EJPaS1_jEEvDpT3_,comdat
.Lfunc_end75:
	.size	_Z6kernelI14subtract_rightLj256ELj8ELb0EJPaS1_jEEvDpT3_, .Lfunc_end75-_Z6kernelI14subtract_rightLj256ELj8ELb0EJPaS1_jEEvDpT3_
                                        ; -- End function
	.section	.AMDGPU.csdata,"",@progbits
; Kernel info:
; codeLenInByte = 780
; NumSgprs: 13
; NumVgprs: 15
; NumAgprs: 0
; TotalNumVgprs: 15
; ScratchSize: 0
; MemoryBound: 0
; FloatMode: 240
; IeeeMode: 1
; LDSByteSize: 512 bytes/workgroup (compile time only)
; SGPRBlocks: 1
; VGPRBlocks: 1
; NumSGPRsForWavesPerEU: 13
; NumVGPRsForWavesPerEU: 15
; AccumOffset: 16
; Occupancy: 8
; WaveLimiterHint : 1
; COMPUTE_PGM_RSRC2:SCRATCH_EN: 0
; COMPUTE_PGM_RSRC2:USER_SGPR: 6
; COMPUTE_PGM_RSRC2:TRAP_HANDLER: 0
; COMPUTE_PGM_RSRC2:TGID_X_EN: 1
; COMPUTE_PGM_RSRC2:TGID_Y_EN: 0
; COMPUTE_PGM_RSRC2:TGID_Z_EN: 0
; COMPUTE_PGM_RSRC2:TIDIG_COMP_CNT: 0
; COMPUTE_PGM_RSRC3_GFX90A:ACCUM_OFFSET: 3
; COMPUTE_PGM_RSRC3_GFX90A:TG_SPLIT: 0
	.section	.text._Z6kernelI14subtract_rightLj256ELj16ELb0EJPaS1_jEEvDpT3_,"axG",@progbits,_Z6kernelI14subtract_rightLj256ELj16ELb0EJPaS1_jEEvDpT3_,comdat
	.protected	_Z6kernelI14subtract_rightLj256ELj16ELb0EJPaS1_jEEvDpT3_ ; -- Begin function _Z6kernelI14subtract_rightLj256ELj16ELb0EJPaS1_jEEvDpT3_
	.globl	_Z6kernelI14subtract_rightLj256ELj16ELb0EJPaS1_jEEvDpT3_
	.p2align	8
	.type	_Z6kernelI14subtract_rightLj256ELj16ELb0EJPaS1_jEEvDpT3_,@function
_Z6kernelI14subtract_rightLj256ELj16ELb0EJPaS1_jEEvDpT3_: ; @_Z6kernelI14subtract_rightLj256ELj16ELb0EJPaS1_jEEvDpT3_
; %bb.0:
	s_load_dwordx4 s[0:3], s[4:5], 0x0
	s_load_dword s7, s[4:5], 0x10
	s_lshl_b32 s4, s6, 12
	s_waitcnt lgkmcnt(0)
	s_add_u32 s0, s0, s4
	s_addc_u32 s1, s1, 0
	global_load_ubyte v1, v0, s[0:1] offset:256
	global_load_ubyte v2, v0, s[0:1] offset:768
	;; [unrolled: 1-line block ×8, first 2 shown]
	global_load_ubyte v9, v0, s[0:1]
	global_load_ubyte v10, v0, s[0:1] offset:512
	global_load_ubyte v11, v0, s[0:1] offset:1024
	global_load_ubyte v12, v0, s[0:1] offset:1536
	global_load_ubyte v13, v0, s[0:1] offset:2048
	global_load_ubyte v14, v0, s[0:1] offset:2560
	global_load_ubyte v15, v0, s[0:1] offset:3072
	global_load_ubyte v16, v0, s[0:1] offset:3584
	s_cmp_eq_u32 s7, 0
	s_waitcnt vmcnt(15)
	v_lshlrev_b16_e32 v1, 8, v1
	s_waitcnt vmcnt(14)
	v_lshlrev_b16_e32 v2, 8, v2
	;; [unrolled: 2-line block ×8, first 2 shown]
	s_waitcnt vmcnt(7)
	v_or_b32_e32 v1, v9, v1
	s_waitcnt vmcnt(6)
	v_or_b32_sdwa v2, v10, v2 dst_sel:WORD_1 dst_unused:UNUSED_PAD src0_sel:DWORD src1_sel:DWORD
	s_waitcnt vmcnt(5)
	v_or_b32_e32 v3, v11, v3
	s_waitcnt vmcnt(4)
	v_or_b32_sdwa v9, v12, v4 dst_sel:WORD_1 dst_unused:UNUSED_PAD src0_sel:DWORD src1_sel:DWORD
	;; [unrolled: 4-line block ×4, first 2 shown]
	v_or_b32_sdwa v4, v1, v2 dst_sel:DWORD dst_unused:UNUSED_PAD src0_sel:WORD_0 src1_sel:DWORD
	v_or_b32_sdwa v5, v3, v9 dst_sel:DWORD dst_unused:UNUSED_PAD src0_sel:WORD_0 src1_sel:DWORD
	;; [unrolled: 1-line block ×4, first 2 shown]
	s_cbranch_scc1 .LBB76_5
; %bb.1:
	s_movk_i32 s5, 0xff
	v_cmp_ne_u32_e32 vcc, s5, v0
	s_movk_i32 s6, 0xff00
	v_mov_b32_e32 v1, 8
	s_branch .LBB76_3
.LBB76_2:                               ;   in Loop: Header=BB76_3 Depth=1
	s_or_b64 exec, exec, s[0:1]
	v_lshrrev_b32_e32 v13, 16, v9
	v_lshrrev_b32_e32 v15, 16, v14
	v_add_u16_e32 v19, v9, v4
	v_lshrrev_b32_e32 v20, 8, v9
	v_add_u16_sdwa v4, v13, v4 dst_sel:DWORD dst_unused:UNUSED_PAD src0_sel:DWORD src1_sel:WORD_1
	v_add_u16_sdwa v6, v9, v6 dst_sel:BYTE_1 dst_unused:UNUSED_PAD src0_sel:BYTE_3 src1_sel:DWORD
	v_add_u16_e32 v9, v14, v5
	v_lshrrev_b32_e32 v13, 8, v14
	v_lshrrev_b32_e32 v14, 24, v14
	;; [unrolled: 1-line block ×3, first 2 shown]
	v_add_u16_sdwa v11, v13, v11 dst_sel:BYTE_1 dst_unused:UNUSED_PAD src0_sel:DWORD src1_sel:DWORD
	v_add_u16_sdwa v13, v15, v5 dst_sel:DWORD dst_unused:UNUSED_PAD src0_sel:DWORD src1_sel:WORD_1
	v_add_u16_sdwa v5, v14, v5 dst_sel:DWORD dst_unused:UNUSED_PAD src0_sel:DWORD src1_sel:BYTE_3
	v_lshrrev_b32_e32 v18, 16, v23
	v_add_u16_e32 v14, v16, v2
	v_lshrrev_b32_e32 v15, 8, v16
	v_add_u16_sdwa v2, v17, v2 dst_sel:DWORD dst_unused:UNUSED_PAD src0_sel:DWORD src1_sel:WORD_1
	v_add_u16_sdwa v8, v16, v8 dst_sel:BYTE_1 dst_unused:UNUSED_PAD src0_sel:BYTE_3 src1_sel:DWORD
	v_lshrrev_b32_e32 v16, 8, v23
	v_lshrrev_b32_e32 v17, 24, v23
	v_lshlrev_b16_e32 v5, 8, v5
	v_add_u16_sdwa v7, v15, v7 dst_sel:BYTE_1 dst_unused:UNUSED_PAD src0_sel:DWORD src1_sel:DWORD
	v_add_u16_e32 v15, v23, v3
	v_add_u16_sdwa v10, v16, v10 dst_sel:BYTE_1 dst_unused:UNUSED_PAD src0_sel:DWORD src1_sel:DWORD
	v_add_u16_sdwa v16, v18, v3 dst_sel:DWORD dst_unused:UNUSED_PAD src0_sel:DWORD src1_sel:WORD_1
	v_add_u16_sdwa v3, v17, v3 dst_sel:DWORD dst_unused:UNUSED_PAD src0_sel:DWORD src1_sel:BYTE_3
	v_or_b32_sdwa v4, v4, v6 dst_sel:WORD_1 dst_unused:UNUSED_PAD src0_sel:BYTE_0 src1_sel:DWORD
	v_or_b32_sdwa v6, v9, v11 dst_sel:DWORD dst_unused:UNUSED_PAD src0_sel:BYTE_0 src1_sel:DWORD
	v_or_b32_sdwa v5, v13, v5 dst_sel:WORD_1 dst_unused:UNUSED_PAD src0_sel:BYTE_0 src1_sel:DWORD
	v_add_u16_sdwa v12, v20, v12 dst_sel:BYTE_1 dst_unused:UNUSED_PAD src0_sel:DWORD src1_sel:DWORD
	v_or_b32_sdwa v5, v6, v5 dst_sel:DWORD dst_unused:UNUSED_PAD src0_sel:WORD_0 src1_sel:DWORD
	v_or_b32_sdwa v6, v14, v7 dst_sel:DWORD dst_unused:UNUSED_PAD src0_sel:BYTE_0 src1_sel:DWORD
	v_or_b32_sdwa v2, v2, v8 dst_sel:WORD_1 dst_unused:UNUSED_PAD src0_sel:BYTE_0 src1_sel:DWORD
	v_lshlrev_b16_e32 v3, 8, v3
	v_or_b32_sdwa v12, v19, v12 dst_sel:DWORD dst_unused:UNUSED_PAD src0_sel:BYTE_0 src1_sel:DWORD
	v_or_b32_sdwa v2, v6, v2 dst_sel:DWORD dst_unused:UNUSED_PAD src0_sel:WORD_0 src1_sel:DWORD
	v_or_b32_sdwa v6, v15, v10 dst_sel:DWORD dst_unused:UNUSED_PAD src0_sel:BYTE_0 src1_sel:DWORD
	v_or_b32_sdwa v3, v16, v3 dst_sel:WORD_1 dst_unused:UNUSED_PAD src0_sel:BYTE_0 src1_sel:DWORD
	s_add_i32 s7, s7, -1
	v_or_b32_sdwa v4, v12, v4 dst_sel:DWORD dst_unused:UNUSED_PAD src0_sel:WORD_0 src1_sel:DWORD
	s_cmp_lg_u32 s7, 0
	v_or_b32_sdwa v3, v6, v3 dst_sel:DWORD dst_unused:UNUSED_PAD src0_sel:WORD_0 src1_sel:DWORD
	s_barrier
	s_cbranch_scc0 .LBB76_5
.LBB76_3:                               ; =>This Inner Loop Header: Depth=1
	v_and_b32_sdwa v6, v3, s6 dst_sel:DWORD dst_unused:UNUSED_PAD src0_sel:WORD_1 src1_sel:DWORD
	v_sub_u16_sdwa v7, v3, v3 dst_sel:DWORD dst_unused:UNUSED_PAD src0_sel:WORD_1 src1_sel:BYTE_3
	v_lshrrev_b32_e32 v12, 8, v4
	v_or_b32_sdwa v13, v7, v6 dst_sel:DWORD dst_unused:UNUSED_PAD src0_sel:BYTE_0 src1_sel:DWORD
	v_sub_u16_e32 v6, v4, v12
	v_sub_u16_sdwa v7, v12, v4 dst_sel:BYTE_1 dst_unused:UNUSED_PAD src0_sel:DWORD src1_sel:WORD_1
	v_or_b32_sdwa v15, v6, v7 dst_sel:DWORD dst_unused:UNUSED_PAD src0_sel:BYTE_0 src1_sel:DWORD
	v_lshrrev_b64 v[6:7], 24, v[4:5]
	v_lshrrev_b32_e32 v11, 8, v5
	v_sub_u16_sdwa v7, v4, v6 dst_sel:DWORD dst_unused:UNUSED_PAD src0_sel:WORD_1 src1_sel:DWORD
	v_sub_u16_sdwa v14, v6, v5 dst_sel:BYTE_1 dst_unused:UNUSED_PAD src0_sel:DWORD src1_sel:DWORD
	v_or_b32_sdwa v18, v7, v14 dst_sel:DWORD dst_unused:UNUSED_PAD src0_sel:BYTE_0 src1_sel:DWORD
	v_sub_u16_e32 v7, v5, v11
	v_sub_u16_sdwa v8, v11, v5 dst_sel:BYTE_1 dst_unused:UNUSED_PAD src0_sel:DWORD src1_sel:WORD_1
	v_or_b32_sdwa v19, v7, v8 dst_sel:DWORD dst_unused:UNUSED_PAD src0_sel:BYTE_0 src1_sel:DWORD
	v_sub_u16_sdwa v7, v5, v5 dst_sel:DWORD dst_unused:UNUSED_PAD src0_sel:WORD_1 src1_sel:BYTE_3
	v_sub_u16_sdwa v8, v5, v2 dst_sel:BYTE_1 dst_unused:UNUSED_PAD src0_sel:BYTE_3 src1_sel:DWORD
	v_or_b32_sdwa v20, v7, v8 dst_sel:DWORD dst_unused:UNUSED_PAD src0_sel:BYTE_0 src1_sel:DWORD
	v_lshrrev_b32_e32 v7, 8, v2
	v_lshrrev_b32_sdwa v23, v1, v8 dst_sel:BYTE_1 dst_unused:UNUSED_PAD src0_sel:DWORD src1_sel:DWORD
	v_sub_u16_e32 v8, v2, v7
	v_sub_u16_sdwa v9, v7, v2 dst_sel:BYTE_1 dst_unused:UNUSED_PAD src0_sel:DWORD src1_sel:WORD_1
	v_or_b32_sdwa v17, v8, v9 dst_sel:DWORD dst_unused:UNUSED_PAD src0_sel:BYTE_0 src1_sel:DWORD
	v_lshrrev_b64 v[8:9], 24, v[2:3]
	v_lshrrev_b32_e32 v10, 8, v3
	v_sub_u16_sdwa v9, v2, v8 dst_sel:DWORD dst_unused:UNUSED_PAD src0_sel:WORD_1 src1_sel:DWORD
	v_sub_u16_sdwa v24, v8, v3 dst_sel:BYTE_1 dst_unused:UNUSED_PAD src0_sel:DWORD src1_sel:DWORD
	v_or_b32_sdwa v21, v9, v24 dst_sel:DWORD dst_unused:UNUSED_PAD src0_sel:BYTE_0 src1_sel:DWORD
	v_sub_u16_e32 v9, v3, v10
	v_sub_u16_sdwa v22, v10, v3 dst_sel:BYTE_1 dst_unused:UNUSED_PAD src0_sel:DWORD src1_sel:WORD_1
	v_or_b32_sdwa v22, v9, v22 dst_sel:DWORD dst_unused:UNUSED_PAD src0_sel:BYTE_0 src1_sel:DWORD
	v_lshrrev_b32_sdwa v9, v1, v15 dst_sel:BYTE_1 dst_unused:UNUSED_PAD src0_sel:DWORD src1_sel:WORD_0
	v_lshrrev_b32_sdwa v14, v1, v14 dst_sel:BYTE_1 dst_unused:UNUSED_PAD src0_sel:DWORD src1_sel:DWORD
	v_lshrrev_b32_sdwa v16, v1, v19 dst_sel:BYTE_1 dst_unused:UNUSED_PAD src0_sel:DWORD src1_sel:WORD_0
	v_or_b32_sdwa v9, v15, v9 dst_sel:DWORD dst_unused:UNUSED_PAD src0_sel:BYTE_0 src1_sel:DWORD
	v_or_b32_sdwa v14, v18, v14 dst_sel:WORD_1 dst_unused:UNUSED_PAD src0_sel:BYTE_0 src1_sel:DWORD
	v_or_b32_sdwa v9, v9, v14 dst_sel:DWORD dst_unused:UNUSED_PAD src0_sel:WORD_0 src1_sel:DWORD
	v_or_b32_sdwa v14, v19, v16 dst_sel:DWORD dst_unused:UNUSED_PAD src0_sel:BYTE_0 src1_sel:DWORD
	v_or_b32_sdwa v16, v20, v23 dst_sel:WORD_1 dst_unused:UNUSED_PAD src0_sel:BYTE_0 src1_sel:DWORD
	v_or_b32_sdwa v14, v14, v16 dst_sel:DWORD dst_unused:UNUSED_PAD src0_sel:WORD_0 src1_sel:DWORD
	v_lshrrev_b32_sdwa v16, v1, v17 dst_sel:BYTE_1 dst_unused:UNUSED_PAD src0_sel:DWORD src1_sel:WORD_0
	v_lshrrev_b32_sdwa v23, v1, v24 dst_sel:BYTE_1 dst_unused:UNUSED_PAD src0_sel:DWORD src1_sel:DWORD
	v_lshrrev_b32_sdwa v25, v1, v22 dst_sel:BYTE_1 dst_unused:UNUSED_PAD src0_sel:DWORD src1_sel:WORD_0
	v_or_b32_sdwa v16, v17, v16 dst_sel:DWORD dst_unused:UNUSED_PAD src0_sel:BYTE_0 src1_sel:DWORD
	v_or_b32_sdwa v23, v21, v23 dst_sel:WORD_1 dst_unused:UNUSED_PAD src0_sel:BYTE_0 src1_sel:DWORD
	v_lshlrev_b16_sdwa v24, v1, v3 dst_sel:DWORD dst_unused:UNUSED_PAD src0_sel:DWORD src1_sel:BYTE_3
	v_or_b32_sdwa v16, v16, v23 dst_sel:DWORD dst_unused:UNUSED_PAD src0_sel:WORD_0 src1_sel:DWORD
	v_or_b32_sdwa v23, v22, v25 dst_sel:DWORD dst_unused:UNUSED_PAD src0_sel:BYTE_0 src1_sel:DWORD
	v_or_b32_sdwa v24, v13, v24 dst_sel:WORD_1 dst_unused:UNUSED_PAD src0_sel:BYTE_0 src1_sel:DWORD
	v_or_b32_sdwa v23, v23, v24 dst_sel:DWORD dst_unused:UNUSED_PAD src0_sel:WORD_0 src1_sel:DWORD
	ds_write_b8 v0, v4 offset:256
	s_waitcnt lgkmcnt(0)
	s_barrier
	s_and_saveexec_b64 s[0:1], vcc
	s_cbranch_execz .LBB76_2
; %bb.4:                                ;   in Loop: Header=BB76_3 Depth=1
	v_lshlrev_b32_e32 v9, 16, v18
	v_or_b32_sdwa v9, v15, v9 dst_sel:DWORD dst_unused:UNUSED_PAD src0_sel:WORD_0 src1_sel:DWORD
	ds_read_u8 v15, v0 offset:257
	v_lshlrev_b32_e32 v13, 16, v13
	v_lshlrev_b32_e32 v16, 16, v21
	v_or_b32_sdwa v13, v22, v13 dst_sel:DWORD dst_unused:UNUSED_PAD src0_sel:WORD_0 src1_sel:DWORD
	v_or_b32_sdwa v16, v17, v16 dst_sel:DWORD dst_unused:UNUSED_PAD src0_sel:WORD_0 src1_sel:DWORD
	s_waitcnt lgkmcnt(0)
	v_sub_u16_sdwa v15, v3, v15 dst_sel:DWORD dst_unused:UNUSED_PAD src0_sel:BYTE_3 src1_sel:DWORD
	v_lshrrev_b32_sdwa v17, v1, v13 dst_sel:BYTE_1 dst_unused:UNUSED_PAD src0_sel:DWORD src1_sel:DWORD
	v_or_b32_sdwa v17, v13, v17 dst_sel:DWORD dst_unused:UNUSED_PAD src0_sel:BYTE_0 src1_sel:DWORD
	v_lshlrev_b16_e32 v15, 8, v15
	v_and_b32_sdwa v13, v13, s5 dst_sel:DWORD dst_unused:UNUSED_PAD src0_sel:WORD_1 src1_sel:DWORD
	v_lshlrev_b32_e32 v14, 16, v20
	v_or_b32_sdwa v13, v13, v15 dst_sel:WORD_1 dst_unused:UNUSED_PAD src0_sel:DWORD src1_sel:DWORD
	v_or_b32_sdwa v14, v19, v14 dst_sel:DWORD dst_unused:UNUSED_PAD src0_sel:WORD_0 src1_sel:DWORD
	v_or_b32_sdwa v23, v17, v13 dst_sel:DWORD dst_unused:UNUSED_PAD src0_sel:WORD_0 src1_sel:DWORD
	s_branch .LBB76_2
.LBB76_5:
	s_add_u32 s0, s2, s4
	s_addc_u32 s1, s3, 0
	v_mov_b32_e32 v1, s1
	v_add_co_u32_e32 v0, vcc, s0, v0
	v_addc_co_u32_e32 v1, vcc, 0, v1, vcc
	v_lshrrev_b32_e32 v6, 8, v4
	global_store_byte v[0:1], v4, off
	global_store_byte v[0:1], v6, off offset:256
	global_store_byte_d16_hi v[0:1], v4, off offset:512
	v_lshrrev_b32_e32 v4, 24, v4
	global_store_byte v[0:1], v4, off offset:768
	global_store_byte v[0:1], v5, off offset:1024
	v_lshrrev_b32_e32 v4, 8, v5
	global_store_byte v[0:1], v4, off offset:1280
	global_store_byte_d16_hi v[0:1], v5, off offset:1536
	v_lshrrev_b32_e32 v4, 24, v5
	global_store_byte v[0:1], v4, off offset:1792
	global_store_byte v[0:1], v2, off offset:2048
	v_lshrrev_b32_e32 v4, 8, v2
	;; [unrolled: 6-line block ×3, first 2 shown]
	global_store_byte v[0:1], v2, off offset:3328
	global_store_byte_d16_hi v[0:1], v3, off offset:3584
	v_lshrrev_b32_e32 v2, 24, v3
	global_store_byte v[0:1], v2, off offset:3840
	s_endpgm
	.section	.rodata,"a",@progbits
	.p2align	6, 0x0
	.amdhsa_kernel _Z6kernelI14subtract_rightLj256ELj16ELb0EJPaS1_jEEvDpT3_
		.amdhsa_group_segment_fixed_size 512
		.amdhsa_private_segment_fixed_size 0
		.amdhsa_kernarg_size 20
		.amdhsa_user_sgpr_count 6
		.amdhsa_user_sgpr_private_segment_buffer 1
		.amdhsa_user_sgpr_dispatch_ptr 0
		.amdhsa_user_sgpr_queue_ptr 0
		.amdhsa_user_sgpr_kernarg_segment_ptr 1
		.amdhsa_user_sgpr_dispatch_id 0
		.amdhsa_user_sgpr_flat_scratch_init 0
		.amdhsa_user_sgpr_kernarg_preload_length 0
		.amdhsa_user_sgpr_kernarg_preload_offset 0
		.amdhsa_user_sgpr_private_segment_size 0
		.amdhsa_uses_dynamic_stack 0
		.amdhsa_system_sgpr_private_segment_wavefront_offset 0
		.amdhsa_system_sgpr_workgroup_id_x 1
		.amdhsa_system_sgpr_workgroup_id_y 0
		.amdhsa_system_sgpr_workgroup_id_z 0
		.amdhsa_system_sgpr_workgroup_info 0
		.amdhsa_system_vgpr_workitem_id 0
		.amdhsa_next_free_vgpr 26
		.amdhsa_next_free_sgpr 8
		.amdhsa_accum_offset 28
		.amdhsa_reserve_vcc 1
		.amdhsa_reserve_flat_scratch 0
		.amdhsa_float_round_mode_32 0
		.amdhsa_float_round_mode_16_64 0
		.amdhsa_float_denorm_mode_32 3
		.amdhsa_float_denorm_mode_16_64 3
		.amdhsa_dx10_clamp 1
		.amdhsa_ieee_mode 1
		.amdhsa_fp16_overflow 0
		.amdhsa_tg_split 0
		.amdhsa_exception_fp_ieee_invalid_op 0
		.amdhsa_exception_fp_denorm_src 0
		.amdhsa_exception_fp_ieee_div_zero 0
		.amdhsa_exception_fp_ieee_overflow 0
		.amdhsa_exception_fp_ieee_underflow 0
		.amdhsa_exception_fp_ieee_inexact 0
		.amdhsa_exception_int_div_zero 0
	.end_amdhsa_kernel
	.section	.text._Z6kernelI14subtract_rightLj256ELj16ELb0EJPaS1_jEEvDpT3_,"axG",@progbits,_Z6kernelI14subtract_rightLj256ELj16ELb0EJPaS1_jEEvDpT3_,comdat
.Lfunc_end76:
	.size	_Z6kernelI14subtract_rightLj256ELj16ELb0EJPaS1_jEEvDpT3_, .Lfunc_end76-_Z6kernelI14subtract_rightLj256ELj16ELb0EJPaS1_jEEvDpT3_
                                        ; -- End function
	.section	.AMDGPU.csdata,"",@progbits
; Kernel info:
; codeLenInByte = 1332
; NumSgprs: 12
; NumVgprs: 26
; NumAgprs: 0
; TotalNumVgprs: 26
; ScratchSize: 0
; MemoryBound: 0
; FloatMode: 240
; IeeeMode: 1
; LDSByteSize: 512 bytes/workgroup (compile time only)
; SGPRBlocks: 1
; VGPRBlocks: 3
; NumSGPRsForWavesPerEU: 12
; NumVGPRsForWavesPerEU: 26
; AccumOffset: 28
; Occupancy: 8
; WaveLimiterHint : 1
; COMPUTE_PGM_RSRC2:SCRATCH_EN: 0
; COMPUTE_PGM_RSRC2:USER_SGPR: 6
; COMPUTE_PGM_RSRC2:TRAP_HANDLER: 0
; COMPUTE_PGM_RSRC2:TGID_X_EN: 1
; COMPUTE_PGM_RSRC2:TGID_Y_EN: 0
; COMPUTE_PGM_RSRC2:TGID_Z_EN: 0
; COMPUTE_PGM_RSRC2:TIDIG_COMP_CNT: 0
; COMPUTE_PGM_RSRC3_GFX90A:ACCUM_OFFSET: 6
; COMPUTE_PGM_RSRC3_GFX90A:TG_SPLIT: 0
	.section	.text._Z6kernelI14subtract_rightLj256ELj32ELb0EJPaS1_jEEvDpT3_,"axG",@progbits,_Z6kernelI14subtract_rightLj256ELj32ELb0EJPaS1_jEEvDpT3_,comdat
	.protected	_Z6kernelI14subtract_rightLj256ELj32ELb0EJPaS1_jEEvDpT3_ ; -- Begin function _Z6kernelI14subtract_rightLj256ELj32ELb0EJPaS1_jEEvDpT3_
	.globl	_Z6kernelI14subtract_rightLj256ELj32ELb0EJPaS1_jEEvDpT3_
	.p2align	8
	.type	_Z6kernelI14subtract_rightLj256ELj32ELb0EJPaS1_jEEvDpT3_,@function
_Z6kernelI14subtract_rightLj256ELj32ELb0EJPaS1_jEEvDpT3_: ; @_Z6kernelI14subtract_rightLj256ELj32ELb0EJPaS1_jEEvDpT3_
; %bb.0:
	s_load_dwordx4 s[0:3], s[4:5], 0x0
	s_load_dword s7, s[4:5], 0x10
	s_lshl_b32 s4, s6, 13
	s_waitcnt lgkmcnt(0)
	s_add_u32 s0, s0, s4
	s_addc_u32 s1, s1, 0
	v_mov_b32_e32 v1, s1
	v_add_co_u32_e32 v2, vcc, s0, v0
	v_addc_co_u32_e32 v1, vcc, 0, v1, vcc
	global_load_ubyte v32, v0, s[0:1]
	global_load_ubyte v31, v0, s[0:1] offset:256
	global_load_ubyte v30, v0, s[0:1] offset:512
	;; [unrolled: 1-line block ×15, first 2 shown]
	s_movk_i32 s0, 0x1000
	v_add_co_u32_e32 v34, vcc, s0, v2
	v_addc_co_u32_e32 v35, vcc, 0, v1, vcc
	global_load_ubyte v16, v[34:35], off
	global_load_ubyte v15, v[34:35], off offset:256
	global_load_ubyte v14, v[34:35], off offset:512
	;; [unrolled: 1-line block ×15, first 2 shown]
	s_cmp_eq_u32 s7, 0
	s_cbranch_scc1 .LBB77_5
; %bb.1:
	s_movk_i32 s0, 0xff
	v_cmp_ne_u32_e32 vcc, s0, v0
	s_branch .LBB77_3
.LBB77_2:                               ;   in Loop: Header=BB77_3 Depth=1
	s_or_b64 exec, exec, s[0:1]
	v_sub_u16_e32 v34, v32, v31
	v_sub_u16_e32 v35, v31, v30
	;; [unrolled: 1-line block ×27, first 2 shown]
	v_add_u16_e32 v32, v34, v32
	v_sub_u16_e32 v34, v5, v4
	v_add_u16_e32 v31, v35, v31
	v_sub_u16_e32 v35, v4, v3
	;; [unrolled: 2-line block ×4, first 2 shown]
	s_add_i32 s7, s7, -1
	v_add_u16_e32 v28, v38, v28
	v_add_u16_e32 v27, v39, v27
	;; [unrolled: 1-line block ×28, first 2 shown]
	s_cmp_lg_u32 s7, 0
	s_barrier
	s_cbranch_scc0 .LBB77_5
.LBB77_3:                               ; =>This Inner Loop Header: Depth=1
	s_waitcnt vmcnt(0)
	v_mov_b32_e32 v33, v1
	ds_write_b8 v0, v32 offset:256
	s_waitcnt lgkmcnt(0)
	s_barrier
	s_and_saveexec_b64 s[0:1], vcc
	s_cbranch_execz .LBB77_2
; %bb.4:                                ;   in Loop: Header=BB77_3 Depth=1
	ds_read_u8 v33, v0 offset:257
	s_waitcnt lgkmcnt(0)
	v_sub_u16_e32 v33, v1, v33
	s_branch .LBB77_2
.LBB77_5:
	s_add_u32 s0, s2, s4
	s_addc_u32 s1, s3, 0
	v_mov_b32_e32 v33, s1
	v_add_co_u32_e32 v34, vcc, s0, v0
	v_addc_co_u32_e32 v35, vcc, 0, v33, vcc
	s_movk_i32 s0, 0x1000
	s_waitcnt vmcnt(31)
	global_store_byte v[34:35], v32, off
	s_waitcnt vmcnt(31)
	global_store_byte v[34:35], v31, off offset:256
	s_waitcnt vmcnt(31)
	global_store_byte v[34:35], v30, off offset:512
	;; [unrolled: 2-line block ×15, first 2 shown]
	v_add_co_u32_e32 v18, vcc, s0, v34
	v_addc_co_u32_e32 v19, vcc, 0, v35, vcc
	s_waitcnt vmcnt(31)
	global_store_byte v[18:19], v16, off
	s_waitcnt vmcnt(31)
	global_store_byte v[18:19], v15, off offset:256
	s_waitcnt vmcnt(31)
	global_store_byte v[18:19], v14, off offset:512
	;; [unrolled: 2-line block ×15, first 2 shown]
	s_endpgm
	.section	.rodata,"a",@progbits
	.p2align	6, 0x0
	.amdhsa_kernel _Z6kernelI14subtract_rightLj256ELj32ELb0EJPaS1_jEEvDpT3_
		.amdhsa_group_segment_fixed_size 512
		.amdhsa_private_segment_fixed_size 0
		.amdhsa_kernarg_size 20
		.amdhsa_user_sgpr_count 6
		.amdhsa_user_sgpr_private_segment_buffer 1
		.amdhsa_user_sgpr_dispatch_ptr 0
		.amdhsa_user_sgpr_queue_ptr 0
		.amdhsa_user_sgpr_kernarg_segment_ptr 1
		.amdhsa_user_sgpr_dispatch_id 0
		.amdhsa_user_sgpr_flat_scratch_init 0
		.amdhsa_user_sgpr_kernarg_preload_length 0
		.amdhsa_user_sgpr_kernarg_preload_offset 0
		.amdhsa_user_sgpr_private_segment_size 0
		.amdhsa_uses_dynamic_stack 0
		.amdhsa_system_sgpr_private_segment_wavefront_offset 0
		.amdhsa_system_sgpr_workgroup_id_x 1
		.amdhsa_system_sgpr_workgroup_id_y 0
		.amdhsa_system_sgpr_workgroup_id_z 0
		.amdhsa_system_sgpr_workgroup_info 0
		.amdhsa_system_vgpr_workitem_id 0
		.amdhsa_next_free_vgpr 61
		.amdhsa_next_free_sgpr 8
		.amdhsa_accum_offset 64
		.amdhsa_reserve_vcc 1
		.amdhsa_reserve_flat_scratch 0
		.amdhsa_float_round_mode_32 0
		.amdhsa_float_round_mode_16_64 0
		.amdhsa_float_denorm_mode_32 3
		.amdhsa_float_denorm_mode_16_64 3
		.amdhsa_dx10_clamp 1
		.amdhsa_ieee_mode 1
		.amdhsa_fp16_overflow 0
		.amdhsa_tg_split 0
		.amdhsa_exception_fp_ieee_invalid_op 0
		.amdhsa_exception_fp_denorm_src 0
		.amdhsa_exception_fp_ieee_div_zero 0
		.amdhsa_exception_fp_ieee_overflow 0
		.amdhsa_exception_fp_ieee_underflow 0
		.amdhsa_exception_fp_ieee_inexact 0
		.amdhsa_exception_int_div_zero 0
	.end_amdhsa_kernel
	.section	.text._Z6kernelI14subtract_rightLj256ELj32ELb0EJPaS1_jEEvDpT3_,"axG",@progbits,_Z6kernelI14subtract_rightLj256ELj32ELb0EJPaS1_jEEvDpT3_,comdat
.Lfunc_end77:
	.size	_Z6kernelI14subtract_rightLj256ELj32ELb0EJPaS1_jEEvDpT3_, .Lfunc_end77-_Z6kernelI14subtract_rightLj256ELj32ELb0EJPaS1_jEEvDpT3_
                                        ; -- End function
	.section	.AMDGPU.csdata,"",@progbits
; Kernel info:
; codeLenInByte = 1076
; NumSgprs: 12
; NumVgprs: 61
; NumAgprs: 0
; TotalNumVgprs: 61
; ScratchSize: 0
; MemoryBound: 0
; FloatMode: 240
; IeeeMode: 1
; LDSByteSize: 512 bytes/workgroup (compile time only)
; SGPRBlocks: 1
; VGPRBlocks: 7
; NumSGPRsForWavesPerEU: 12
; NumVGPRsForWavesPerEU: 61
; AccumOffset: 64
; Occupancy: 8
; WaveLimiterHint : 1
; COMPUTE_PGM_RSRC2:SCRATCH_EN: 0
; COMPUTE_PGM_RSRC2:USER_SGPR: 6
; COMPUTE_PGM_RSRC2:TRAP_HANDLER: 0
; COMPUTE_PGM_RSRC2:TGID_X_EN: 1
; COMPUTE_PGM_RSRC2:TGID_Y_EN: 0
; COMPUTE_PGM_RSRC2:TGID_Z_EN: 0
; COMPUTE_PGM_RSRC2:TIDIG_COMP_CNT: 0
; COMPUTE_PGM_RSRC3_GFX90A:ACCUM_OFFSET: 15
; COMPUTE_PGM_RSRC3_GFX90A:TG_SPLIT: 0
	.section	.text._Z6kernelI14subtract_rightLj256ELj1ELb0EJPxS1_jEEvDpT3_,"axG",@progbits,_Z6kernelI14subtract_rightLj256ELj1ELb0EJPxS1_jEEvDpT3_,comdat
	.protected	_Z6kernelI14subtract_rightLj256ELj1ELb0EJPxS1_jEEvDpT3_ ; -- Begin function _Z6kernelI14subtract_rightLj256ELj1ELb0EJPxS1_jEEvDpT3_
	.globl	_Z6kernelI14subtract_rightLj256ELj1ELb0EJPxS1_jEEvDpT3_
	.p2align	8
	.type	_Z6kernelI14subtract_rightLj256ELj1ELb0EJPxS1_jEEvDpT3_,@function
_Z6kernelI14subtract_rightLj256ELj1ELb0EJPxS1_jEEvDpT3_: ; @_Z6kernelI14subtract_rightLj256ELj1ELb0EJPxS1_jEEvDpT3_
; %bb.0:
	s_load_dwordx4 s[0:3], s[4:5], 0x0
	s_load_dword s8, s[4:5], 0x10
	s_lshl_b32 s4, s6, 8
	s_mov_b32 s5, 0
	s_lshl_b64 s[4:5], s[4:5], 3
	s_waitcnt lgkmcnt(0)
	s_add_u32 s0, s0, s4
	s_addc_u32 s1, s1, s5
	v_lshlrev_b32_e32 v4, 3, v0
	global_load_dwordx2 v[2:3], v4, s[0:1]
	s_cmp_eq_u32 s8, 0
	s_cbranch_scc1 .LBB78_5
; %bb.1:
	s_movk_i32 s0, 0xff
	v_cmp_ne_u32_e32 vcc, s0, v0
	v_or_b32_e32 v5, 0x800, v4
	s_branch .LBB78_3
.LBB78_2:                               ;   in Loop: Header=BB78_3 Depth=1
	s_or_b64 exec, exec, s[6:7]
	v_add_co_u32_e64 v2, s[0:1], v0, v2
	s_add_i32 s8, s8, -1
	v_addc_co_u32_e64 v3, s[0:1], v1, v3, s[0:1]
	s_cmp_lg_u32 s8, 0
	s_barrier
	s_cbranch_scc0 .LBB78_5
.LBB78_3:                               ; =>This Inner Loop Header: Depth=1
	s_waitcnt vmcnt(0)
	v_pk_mov_b32 v[0:1], v[2:3], v[2:3] op_sel:[0,1]
	ds_write_b64 v4, v[2:3] offset:2048
	s_waitcnt lgkmcnt(0)
	s_barrier
	s_and_saveexec_b64 s[6:7], vcc
	s_cbranch_execz .LBB78_2
; %bb.4:                                ;   in Loop: Header=BB78_3 Depth=1
	ds_read_b64 v[0:1], v5 offset:8
	s_waitcnt lgkmcnt(0)
	v_sub_co_u32_e64 v0, s[0:1], v2, v0
	v_subb_co_u32_e64 v1, s[0:1], v3, v1, s[0:1]
	s_branch .LBB78_2
.LBB78_5:
	s_add_u32 s0, s2, s4
	s_addc_u32 s1, s3, s5
	s_waitcnt vmcnt(0)
	global_store_dwordx2 v4, v[2:3], s[0:1]
	s_endpgm
	.section	.rodata,"a",@progbits
	.p2align	6, 0x0
	.amdhsa_kernel _Z6kernelI14subtract_rightLj256ELj1ELb0EJPxS1_jEEvDpT3_
		.amdhsa_group_segment_fixed_size 4096
		.amdhsa_private_segment_fixed_size 0
		.amdhsa_kernarg_size 20
		.amdhsa_user_sgpr_count 6
		.amdhsa_user_sgpr_private_segment_buffer 1
		.amdhsa_user_sgpr_dispatch_ptr 0
		.amdhsa_user_sgpr_queue_ptr 0
		.amdhsa_user_sgpr_kernarg_segment_ptr 1
		.amdhsa_user_sgpr_dispatch_id 0
		.amdhsa_user_sgpr_flat_scratch_init 0
		.amdhsa_user_sgpr_kernarg_preload_length 0
		.amdhsa_user_sgpr_kernarg_preload_offset 0
		.amdhsa_user_sgpr_private_segment_size 0
		.amdhsa_uses_dynamic_stack 0
		.amdhsa_system_sgpr_private_segment_wavefront_offset 0
		.amdhsa_system_sgpr_workgroup_id_x 1
		.amdhsa_system_sgpr_workgroup_id_y 0
		.amdhsa_system_sgpr_workgroup_id_z 0
		.amdhsa_system_sgpr_workgroup_info 0
		.amdhsa_system_vgpr_workitem_id 0
		.amdhsa_next_free_vgpr 6
		.amdhsa_next_free_sgpr 9
		.amdhsa_accum_offset 8
		.amdhsa_reserve_vcc 1
		.amdhsa_reserve_flat_scratch 0
		.amdhsa_float_round_mode_32 0
		.amdhsa_float_round_mode_16_64 0
		.amdhsa_float_denorm_mode_32 3
		.amdhsa_float_denorm_mode_16_64 3
		.amdhsa_dx10_clamp 1
		.amdhsa_ieee_mode 1
		.amdhsa_fp16_overflow 0
		.amdhsa_tg_split 0
		.amdhsa_exception_fp_ieee_invalid_op 0
		.amdhsa_exception_fp_denorm_src 0
		.amdhsa_exception_fp_ieee_div_zero 0
		.amdhsa_exception_fp_ieee_overflow 0
		.amdhsa_exception_fp_ieee_underflow 0
		.amdhsa_exception_fp_ieee_inexact 0
		.amdhsa_exception_int_div_zero 0
	.end_amdhsa_kernel
	.section	.text._Z6kernelI14subtract_rightLj256ELj1ELb0EJPxS1_jEEvDpT3_,"axG",@progbits,_Z6kernelI14subtract_rightLj256ELj1ELb0EJPxS1_jEEvDpT3_,comdat
.Lfunc_end78:
	.size	_Z6kernelI14subtract_rightLj256ELj1ELb0EJPxS1_jEEvDpT3_, .Lfunc_end78-_Z6kernelI14subtract_rightLj256ELj1ELb0EJPxS1_jEEvDpT3_
                                        ; -- End function
	.section	.AMDGPU.csdata,"",@progbits
; Kernel info:
; codeLenInByte = 208
; NumSgprs: 13
; NumVgprs: 6
; NumAgprs: 0
; TotalNumVgprs: 6
; ScratchSize: 0
; MemoryBound: 0
; FloatMode: 240
; IeeeMode: 1
; LDSByteSize: 4096 bytes/workgroup (compile time only)
; SGPRBlocks: 1
; VGPRBlocks: 0
; NumSGPRsForWavesPerEU: 13
; NumVGPRsForWavesPerEU: 6
; AccumOffset: 8
; Occupancy: 8
; WaveLimiterHint : 0
; COMPUTE_PGM_RSRC2:SCRATCH_EN: 0
; COMPUTE_PGM_RSRC2:USER_SGPR: 6
; COMPUTE_PGM_RSRC2:TRAP_HANDLER: 0
; COMPUTE_PGM_RSRC2:TGID_X_EN: 1
; COMPUTE_PGM_RSRC2:TGID_Y_EN: 0
; COMPUTE_PGM_RSRC2:TGID_Z_EN: 0
; COMPUTE_PGM_RSRC2:TIDIG_COMP_CNT: 0
; COMPUTE_PGM_RSRC3_GFX90A:ACCUM_OFFSET: 1
; COMPUTE_PGM_RSRC3_GFX90A:TG_SPLIT: 0
	.section	.text._Z6kernelI14subtract_rightLj256ELj3ELb0EJPxS1_jEEvDpT3_,"axG",@progbits,_Z6kernelI14subtract_rightLj256ELj3ELb0EJPxS1_jEEvDpT3_,comdat
	.protected	_Z6kernelI14subtract_rightLj256ELj3ELb0EJPxS1_jEEvDpT3_ ; -- Begin function _Z6kernelI14subtract_rightLj256ELj3ELb0EJPxS1_jEEvDpT3_
	.globl	_Z6kernelI14subtract_rightLj256ELj3ELb0EJPxS1_jEEvDpT3_
	.p2align	8
	.type	_Z6kernelI14subtract_rightLj256ELj3ELb0EJPxS1_jEEvDpT3_,@function
_Z6kernelI14subtract_rightLj256ELj3ELb0EJPxS1_jEEvDpT3_: ; @_Z6kernelI14subtract_rightLj256ELj3ELb0EJPxS1_jEEvDpT3_
; %bb.0:
	s_load_dwordx4 s[0:3], s[4:5], 0x0
	s_load_dword s8, s[4:5], 0x10
	s_mul_i32 s4, s6, 0x300
	s_mov_b32 s5, 0
	s_lshl_b64 s[4:5], s[4:5], 3
	s_waitcnt lgkmcnt(0)
	s_add_u32 s0, s0, s4
	s_addc_u32 s1, s1, s5
	v_lshlrev_b32_e32 v8, 3, v0
	v_mov_b32_e32 v1, s1
	v_add_co_u32_e32 v2, vcc, s0, v8
	v_addc_co_u32_e32 v1, vcc, 0, v1, vcc
	v_add_co_u32_e32 v10, vcc, 0x1000, v2
	v_addc_co_u32_e32 v11, vcc, 0, v1, vcc
	global_load_dwordx2 v[4:5], v8, s[0:1]
	global_load_dwordx2 v[6:7], v8, s[0:1] offset:2048
	global_load_dwordx2 v[2:3], v[10:11], off
	s_cmp_eq_u32 s8, 0
	s_cbranch_scc1 .LBB79_5
; %bb.1:
	s_movk_i32 s0, 0xff
	v_cmp_ne_u32_e32 vcc, s0, v0
	v_or_b32_e32 v9, 0x800, v8
	s_branch .LBB79_3
.LBB79_2:                               ;   in Loop: Header=BB79_3 Depth=1
	s_or_b64 exec, exec, s[6:7]
	v_lshlrev_b64 v[4:5], 1, v[4:5]
	v_sub_co_u32_e64 v4, s[0:1], v4, v6
	v_subb_co_u32_e64 v5, s[0:1], v5, v7, s[0:1]
	v_lshlrev_b64 v[6:7], 1, v[6:7]
	v_sub_co_u32_e64 v6, s[0:1], v6, v2
	v_subb_co_u32_e64 v7, s[0:1], v7, v3, s[0:1]
	v_add_co_u32_e64 v2, s[0:1], v0, v2
	s_add_i32 s8, s8, -1
	v_addc_co_u32_e64 v3, s[0:1], v1, v3, s[0:1]
	s_cmp_lg_u32 s8, 0
	s_barrier
	s_cbranch_scc0 .LBB79_5
.LBB79_3:                               ; =>This Inner Loop Header: Depth=1
	s_waitcnt vmcnt(0)
	v_pk_mov_b32 v[0:1], v[2:3], v[2:3] op_sel:[0,1]
	ds_write_b64 v8, v[4:5] offset:2048
	s_waitcnt lgkmcnt(0)
	s_barrier
	s_and_saveexec_b64 s[6:7], vcc
	s_cbranch_execz .LBB79_2
; %bb.4:                                ;   in Loop: Header=BB79_3 Depth=1
	ds_read_b64 v[0:1], v9 offset:8
	s_waitcnt lgkmcnt(0)
	v_sub_co_u32_e64 v0, s[0:1], v2, v0
	v_subb_co_u32_e64 v1, s[0:1], v3, v1, s[0:1]
	s_branch .LBB79_2
.LBB79_5:
	s_add_u32 s0, s2, s4
	s_addc_u32 s1, s3, s5
	v_mov_b32_e32 v0, s1
	v_add_co_u32_e32 v1, vcc, s0, v8
	v_addc_co_u32_e32 v9, vcc, 0, v0, vcc
	v_add_co_u32_e32 v0, vcc, 0x1000, v1
	v_addc_co_u32_e32 v1, vcc, 0, v9, vcc
	s_waitcnt vmcnt(2)
	global_store_dwordx2 v8, v[4:5], s[0:1]
	s_waitcnt vmcnt(2)
	global_store_dwordx2 v8, v[6:7], s[0:1] offset:2048
	s_waitcnt vmcnt(2)
	global_store_dwordx2 v[0:1], v[2:3], off
	s_endpgm
	.section	.rodata,"a",@progbits
	.p2align	6, 0x0
	.amdhsa_kernel _Z6kernelI14subtract_rightLj256ELj3ELb0EJPxS1_jEEvDpT3_
		.amdhsa_group_segment_fixed_size 4096
		.amdhsa_private_segment_fixed_size 0
		.amdhsa_kernarg_size 20
		.amdhsa_user_sgpr_count 6
		.amdhsa_user_sgpr_private_segment_buffer 1
		.amdhsa_user_sgpr_dispatch_ptr 0
		.amdhsa_user_sgpr_queue_ptr 0
		.amdhsa_user_sgpr_kernarg_segment_ptr 1
		.amdhsa_user_sgpr_dispatch_id 0
		.amdhsa_user_sgpr_flat_scratch_init 0
		.amdhsa_user_sgpr_kernarg_preload_length 0
		.amdhsa_user_sgpr_kernarg_preload_offset 0
		.amdhsa_user_sgpr_private_segment_size 0
		.amdhsa_uses_dynamic_stack 0
		.amdhsa_system_sgpr_private_segment_wavefront_offset 0
		.amdhsa_system_sgpr_workgroup_id_x 1
		.amdhsa_system_sgpr_workgroup_id_y 0
		.amdhsa_system_sgpr_workgroup_id_z 0
		.amdhsa_system_sgpr_workgroup_info 0
		.amdhsa_system_vgpr_workitem_id 0
		.amdhsa_next_free_vgpr 12
		.amdhsa_next_free_sgpr 9
		.amdhsa_accum_offset 12
		.amdhsa_reserve_vcc 1
		.amdhsa_reserve_flat_scratch 0
		.amdhsa_float_round_mode_32 0
		.amdhsa_float_round_mode_16_64 0
		.amdhsa_float_denorm_mode_32 3
		.amdhsa_float_denorm_mode_16_64 3
		.amdhsa_dx10_clamp 1
		.amdhsa_ieee_mode 1
		.amdhsa_fp16_overflow 0
		.amdhsa_tg_split 0
		.amdhsa_exception_fp_ieee_invalid_op 0
		.amdhsa_exception_fp_denorm_src 0
		.amdhsa_exception_fp_ieee_div_zero 0
		.amdhsa_exception_fp_ieee_overflow 0
		.amdhsa_exception_fp_ieee_underflow 0
		.amdhsa_exception_fp_ieee_inexact 0
		.amdhsa_exception_int_div_zero 0
	.end_amdhsa_kernel
	.section	.text._Z6kernelI14subtract_rightLj256ELj3ELb0EJPxS1_jEEvDpT3_,"axG",@progbits,_Z6kernelI14subtract_rightLj256ELj3ELb0EJPxS1_jEEvDpT3_,comdat
.Lfunc_end79:
	.size	_Z6kernelI14subtract_rightLj256ELj3ELb0EJPxS1_jEEvDpT3_, .Lfunc_end79-_Z6kernelI14subtract_rightLj256ELj3ELb0EJPxS1_jEEvDpT3_
                                        ; -- End function
	.section	.AMDGPU.csdata,"",@progbits
; Kernel info:
; codeLenInByte = 348
; NumSgprs: 13
; NumVgprs: 12
; NumAgprs: 0
; TotalNumVgprs: 12
; ScratchSize: 0
; MemoryBound: 0
; FloatMode: 240
; IeeeMode: 1
; LDSByteSize: 4096 bytes/workgroup (compile time only)
; SGPRBlocks: 1
; VGPRBlocks: 1
; NumSGPRsForWavesPerEU: 13
; NumVGPRsForWavesPerEU: 12
; AccumOffset: 12
; Occupancy: 8
; WaveLimiterHint : 1
; COMPUTE_PGM_RSRC2:SCRATCH_EN: 0
; COMPUTE_PGM_RSRC2:USER_SGPR: 6
; COMPUTE_PGM_RSRC2:TRAP_HANDLER: 0
; COMPUTE_PGM_RSRC2:TGID_X_EN: 1
; COMPUTE_PGM_RSRC2:TGID_Y_EN: 0
; COMPUTE_PGM_RSRC2:TGID_Z_EN: 0
; COMPUTE_PGM_RSRC2:TIDIG_COMP_CNT: 0
; COMPUTE_PGM_RSRC3_GFX90A:ACCUM_OFFSET: 2
; COMPUTE_PGM_RSRC3_GFX90A:TG_SPLIT: 0
	.section	.text._Z6kernelI14subtract_rightLj256ELj4ELb0EJPxS1_jEEvDpT3_,"axG",@progbits,_Z6kernelI14subtract_rightLj256ELj4ELb0EJPxS1_jEEvDpT3_,comdat
	.protected	_Z6kernelI14subtract_rightLj256ELj4ELb0EJPxS1_jEEvDpT3_ ; -- Begin function _Z6kernelI14subtract_rightLj256ELj4ELb0EJPxS1_jEEvDpT3_
	.globl	_Z6kernelI14subtract_rightLj256ELj4ELb0EJPxS1_jEEvDpT3_
	.p2align	8
	.type	_Z6kernelI14subtract_rightLj256ELj4ELb0EJPxS1_jEEvDpT3_,@function
_Z6kernelI14subtract_rightLj256ELj4ELb0EJPxS1_jEEvDpT3_: ; @_Z6kernelI14subtract_rightLj256ELj4ELb0EJPxS1_jEEvDpT3_
; %bb.0:
	s_load_dwordx4 s[0:3], s[4:5], 0x0
	s_load_dword s8, s[4:5], 0x10
	s_lshl_b32 s4, s6, 10
	s_mov_b32 s5, 0
	s_lshl_b64 s[4:5], s[4:5], 3
	s_waitcnt lgkmcnt(0)
	s_add_u32 s0, s0, s4
	s_addc_u32 s1, s1, s5
	v_lshlrev_b32_e32 v10, 3, v0
	v_mov_b32_e32 v1, s1
	v_add_co_u32_e32 v2, vcc, s0, v10
	v_addc_co_u32_e32 v1, vcc, 0, v1, vcc
	v_add_co_u32_e32 v12, vcc, 0x1000, v2
	v_addc_co_u32_e32 v13, vcc, 0, v1, vcc
	global_load_dwordx2 v[6:7], v10, s[0:1]
	global_load_dwordx2 v[8:9], v10, s[0:1] offset:2048
	global_load_dwordx2 v[4:5], v[12:13], off
	global_load_dwordx2 v[2:3], v[12:13], off offset:2048
	s_cmp_eq_u32 s8, 0
	s_cbranch_scc1 .LBB80_5
; %bb.1:
	s_movk_i32 s0, 0xff
	v_cmp_ne_u32_e32 vcc, s0, v0
	v_or_b32_e32 v11, 0x800, v10
	s_branch .LBB80_3
.LBB80_2:                               ;   in Loop: Header=BB80_3 Depth=1
	s_or_b64 exec, exec, s[6:7]
	v_lshlrev_b64 v[6:7], 1, v[6:7]
	v_sub_co_u32_e64 v6, s[0:1], v6, v8
	v_subb_co_u32_e64 v7, s[0:1], v7, v9, s[0:1]
	v_lshlrev_b64 v[8:9], 1, v[8:9]
	v_sub_co_u32_e64 v8, s[0:1], v8, v4
	v_subb_co_u32_e64 v9, s[0:1], v9, v5, s[0:1]
	;; [unrolled: 3-line block ×3, first 2 shown]
	v_add_co_u32_e64 v2, s[0:1], v0, v2
	s_add_i32 s8, s8, -1
	v_addc_co_u32_e64 v3, s[0:1], v1, v3, s[0:1]
	s_cmp_lg_u32 s8, 0
	s_barrier
	s_cbranch_scc0 .LBB80_5
.LBB80_3:                               ; =>This Inner Loop Header: Depth=1
	s_waitcnt vmcnt(0)
	v_pk_mov_b32 v[0:1], v[2:3], v[2:3] op_sel:[0,1]
	ds_write_b64 v10, v[6:7] offset:2048
	s_waitcnt lgkmcnt(0)
	s_barrier
	s_and_saveexec_b64 s[6:7], vcc
	s_cbranch_execz .LBB80_2
; %bb.4:                                ;   in Loop: Header=BB80_3 Depth=1
	ds_read_b64 v[0:1], v11 offset:8
	s_waitcnt lgkmcnt(0)
	v_sub_co_u32_e64 v0, s[0:1], v2, v0
	v_subb_co_u32_e64 v1, s[0:1], v3, v1, s[0:1]
	s_branch .LBB80_2
.LBB80_5:
	s_add_u32 s0, s2, s4
	s_addc_u32 s1, s3, s5
	v_mov_b32_e32 v0, s1
	v_add_co_u32_e32 v1, vcc, s0, v10
	v_addc_co_u32_e32 v11, vcc, 0, v0, vcc
	v_add_co_u32_e32 v0, vcc, 0x1000, v1
	v_addc_co_u32_e32 v1, vcc, 0, v11, vcc
	s_waitcnt vmcnt(3)
	global_store_dwordx2 v10, v[6:7], s[0:1]
	s_waitcnt vmcnt(3)
	global_store_dwordx2 v10, v[8:9], s[0:1] offset:2048
	s_waitcnt vmcnt(3)
	global_store_dwordx2 v[0:1], v[4:5], off
	s_waitcnt vmcnt(3)
	global_store_dwordx2 v[0:1], v[2:3], off offset:2048
	s_endpgm
	.section	.rodata,"a",@progbits
	.p2align	6, 0x0
	.amdhsa_kernel _Z6kernelI14subtract_rightLj256ELj4ELb0EJPxS1_jEEvDpT3_
		.amdhsa_group_segment_fixed_size 4096
		.amdhsa_private_segment_fixed_size 0
		.amdhsa_kernarg_size 20
		.amdhsa_user_sgpr_count 6
		.amdhsa_user_sgpr_private_segment_buffer 1
		.amdhsa_user_sgpr_dispatch_ptr 0
		.amdhsa_user_sgpr_queue_ptr 0
		.amdhsa_user_sgpr_kernarg_segment_ptr 1
		.amdhsa_user_sgpr_dispatch_id 0
		.amdhsa_user_sgpr_flat_scratch_init 0
		.amdhsa_user_sgpr_kernarg_preload_length 0
		.amdhsa_user_sgpr_kernarg_preload_offset 0
		.amdhsa_user_sgpr_private_segment_size 0
		.amdhsa_uses_dynamic_stack 0
		.amdhsa_system_sgpr_private_segment_wavefront_offset 0
		.amdhsa_system_sgpr_workgroup_id_x 1
		.amdhsa_system_sgpr_workgroup_id_y 0
		.amdhsa_system_sgpr_workgroup_id_z 0
		.amdhsa_system_sgpr_workgroup_info 0
		.amdhsa_system_vgpr_workitem_id 0
		.amdhsa_next_free_vgpr 14
		.amdhsa_next_free_sgpr 9
		.amdhsa_accum_offset 16
		.amdhsa_reserve_vcc 1
		.amdhsa_reserve_flat_scratch 0
		.amdhsa_float_round_mode_32 0
		.amdhsa_float_round_mode_16_64 0
		.amdhsa_float_denorm_mode_32 3
		.amdhsa_float_denorm_mode_16_64 3
		.amdhsa_dx10_clamp 1
		.amdhsa_ieee_mode 1
		.amdhsa_fp16_overflow 0
		.amdhsa_tg_split 0
		.amdhsa_exception_fp_ieee_invalid_op 0
		.amdhsa_exception_fp_denorm_src 0
		.amdhsa_exception_fp_ieee_div_zero 0
		.amdhsa_exception_fp_ieee_overflow 0
		.amdhsa_exception_fp_ieee_underflow 0
		.amdhsa_exception_fp_ieee_inexact 0
		.amdhsa_exception_int_div_zero 0
	.end_amdhsa_kernel
	.section	.text._Z6kernelI14subtract_rightLj256ELj4ELb0EJPxS1_jEEvDpT3_,"axG",@progbits,_Z6kernelI14subtract_rightLj256ELj4ELb0EJPxS1_jEEvDpT3_,comdat
.Lfunc_end80:
	.size	_Z6kernelI14subtract_rightLj256ELj4ELb0EJPxS1_jEEvDpT3_, .Lfunc_end80-_Z6kernelI14subtract_rightLj256ELj4ELb0EJPxS1_jEEvDpT3_
                                        ; -- End function
	.section	.AMDGPU.csdata,"",@progbits
; Kernel info:
; codeLenInByte = 388
; NumSgprs: 13
; NumVgprs: 14
; NumAgprs: 0
; TotalNumVgprs: 14
; ScratchSize: 0
; MemoryBound: 0
; FloatMode: 240
; IeeeMode: 1
; LDSByteSize: 4096 bytes/workgroup (compile time only)
; SGPRBlocks: 1
; VGPRBlocks: 1
; NumSGPRsForWavesPerEU: 13
; NumVGPRsForWavesPerEU: 14
; AccumOffset: 16
; Occupancy: 8
; WaveLimiterHint : 1
; COMPUTE_PGM_RSRC2:SCRATCH_EN: 0
; COMPUTE_PGM_RSRC2:USER_SGPR: 6
; COMPUTE_PGM_RSRC2:TRAP_HANDLER: 0
; COMPUTE_PGM_RSRC2:TGID_X_EN: 1
; COMPUTE_PGM_RSRC2:TGID_Y_EN: 0
; COMPUTE_PGM_RSRC2:TGID_Z_EN: 0
; COMPUTE_PGM_RSRC2:TIDIG_COMP_CNT: 0
; COMPUTE_PGM_RSRC3_GFX90A:ACCUM_OFFSET: 3
; COMPUTE_PGM_RSRC3_GFX90A:TG_SPLIT: 0
	.section	.text._Z6kernelI14subtract_rightLj256ELj8ELb0EJPxS1_jEEvDpT3_,"axG",@progbits,_Z6kernelI14subtract_rightLj256ELj8ELb0EJPxS1_jEEvDpT3_,comdat
	.protected	_Z6kernelI14subtract_rightLj256ELj8ELb0EJPxS1_jEEvDpT3_ ; -- Begin function _Z6kernelI14subtract_rightLj256ELj8ELb0EJPxS1_jEEvDpT3_
	.globl	_Z6kernelI14subtract_rightLj256ELj8ELb0EJPxS1_jEEvDpT3_
	.p2align	8
	.type	_Z6kernelI14subtract_rightLj256ELj8ELb0EJPxS1_jEEvDpT3_,@function
_Z6kernelI14subtract_rightLj256ELj8ELb0EJPxS1_jEEvDpT3_: ; @_Z6kernelI14subtract_rightLj256ELj8ELb0EJPxS1_jEEvDpT3_
; %bb.0:
	s_load_dwordx4 s[0:3], s[4:5], 0x0
	s_load_dword s8, s[4:5], 0x10
	s_lshl_b32 s4, s6, 11
	s_mov_b32 s5, 0
	s_lshl_b64 s[4:5], s[4:5], 3
	s_waitcnt lgkmcnt(0)
	s_add_u32 s0, s0, s4
	s_addc_u32 s1, s1, s5
	v_lshlrev_b32_e32 v18, 3, v0
	v_mov_b32_e32 v1, s1
	v_add_co_u32_e32 v12, vcc, s0, v18
	v_addc_co_u32_e32 v1, vcc, 0, v1, vcc
	s_movk_i32 s6, 0x1000
	v_add_co_u32_e32 v10, vcc, s6, v12
	v_addc_co_u32_e32 v11, vcc, 0, v1, vcc
	v_add_co_u32_e32 v20, vcc, 0x2000, v12
	v_addc_co_u32_e32 v21, vcc, 0, v1, vcc
	v_add_co_u32_e32 v22, vcc, 0x3000, v12
	global_load_dwordx2 v[6:7], v18, s[0:1]
	global_load_dwordx2 v[8:9], v18, s[0:1] offset:2048
	global_load_dwordx2 v[2:3], v[10:11], off
	global_load_dwordx2 v[4:5], v[10:11], off offset:2048
	v_addc_co_u32_e32 v23, vcc, 0, v1, vcc
	global_load_dwordx2 v[14:15], v[20:21], off
	global_load_dwordx2 v[16:17], v[20:21], off offset:2048
	global_load_dwordx2 v[10:11], v[22:23], off
	global_load_dwordx2 v[12:13], v[22:23], off offset:2048
	s_cmp_eq_u32 s8, 0
	s_cbranch_scc1 .LBB81_5
; %bb.1:
	s_movk_i32 s0, 0xff
	v_cmp_ne_u32_e32 vcc, s0, v0
	v_or_b32_e32 v19, 0x800, v18
	s_branch .LBB81_3
.LBB81_2:                               ;   in Loop: Header=BB81_3 Depth=1
	s_or_b64 exec, exec, s[6:7]
	v_sub_co_u32_e64 v20, s[0:1], v6, v8
	v_subb_co_u32_e64 v21, s[0:1], v7, v9, s[0:1]
	v_sub_co_u32_e64 v22, s[0:1], v8, v2
	v_subb_co_u32_e64 v23, s[0:1], v9, v3, s[0:1]
	;; [unrolled: 2-line block ×7, first 2 shown]
	v_add_co_u32_e64 v6, s[0:1], v20, v6
	v_addc_co_u32_e64 v7, s[0:1], v21, v7, s[0:1]
	v_add_co_u32_e64 v8, s[0:1], v22, v8
	v_addc_co_u32_e64 v9, s[0:1], v23, v9, s[0:1]
	;; [unrolled: 2-line block ×7, first 2 shown]
	v_add_co_u32_e64 v12, s[0:1], v0, v12
	s_add_i32 s8, s8, -1
	v_addc_co_u32_e64 v13, s[0:1], v1, v13, s[0:1]
	s_cmp_lg_u32 s8, 0
	s_barrier
	s_cbranch_scc0 .LBB81_5
.LBB81_3:                               ; =>This Inner Loop Header: Depth=1
	s_waitcnt vmcnt(0)
	v_pk_mov_b32 v[0:1], v[12:13], v[12:13] op_sel:[0,1]
	ds_write_b64 v18, v[6:7] offset:2048
	s_waitcnt lgkmcnt(0)
	s_barrier
	s_and_saveexec_b64 s[6:7], vcc
	s_cbranch_execz .LBB81_2
; %bb.4:                                ;   in Loop: Header=BB81_3 Depth=1
	ds_read_b64 v[0:1], v19 offset:8
	s_waitcnt lgkmcnt(0)
	v_sub_co_u32_e64 v0, s[0:1], v12, v0
	v_subb_co_u32_e64 v1, s[0:1], v13, v1, s[0:1]
	s_branch .LBB81_2
.LBB81_5:
	s_add_u32 s0, s2, s4
	s_addc_u32 s1, s3, s5
	v_mov_b32_e32 v0, s1
	v_add_co_u32_e32 v19, vcc, s0, v18
	v_addc_co_u32_e32 v20, vcc, 0, v0, vcc
	v_add_co_u32_e32 v0, vcc, 0x1000, v19
	v_addc_co_u32_e32 v1, vcc, 0, v20, vcc
	s_waitcnt vmcnt(7)
	global_store_dwordx2 v18, v[6:7], s[0:1]
	s_waitcnt vmcnt(7)
	global_store_dwordx2 v18, v[8:9], s[0:1] offset:2048
	s_waitcnt vmcnt(7)
	global_store_dwordx2 v[0:1], v[2:3], off
	s_waitcnt vmcnt(7)
	global_store_dwordx2 v[0:1], v[4:5], off offset:2048
	v_add_co_u32_e32 v0, vcc, 0x2000, v19
	v_addc_co_u32_e32 v1, vcc, 0, v20, vcc
	s_waitcnt vmcnt(7)
	global_store_dwordx2 v[0:1], v[14:15], off
	s_waitcnt vmcnt(7)
	global_store_dwordx2 v[0:1], v[16:17], off offset:2048
	v_add_co_u32_e32 v0, vcc, 0x3000, v19
	v_addc_co_u32_e32 v1, vcc, 0, v20, vcc
	s_waitcnt vmcnt(7)
	global_store_dwordx2 v[0:1], v[10:11], off
	s_waitcnt vmcnt(7)
	global_store_dwordx2 v[0:1], v[12:13], off offset:2048
	s_endpgm
	.section	.rodata,"a",@progbits
	.p2align	6, 0x0
	.amdhsa_kernel _Z6kernelI14subtract_rightLj256ELj8ELb0EJPxS1_jEEvDpT3_
		.amdhsa_group_segment_fixed_size 4096
		.amdhsa_private_segment_fixed_size 0
		.amdhsa_kernarg_size 20
		.amdhsa_user_sgpr_count 6
		.amdhsa_user_sgpr_private_segment_buffer 1
		.amdhsa_user_sgpr_dispatch_ptr 0
		.amdhsa_user_sgpr_queue_ptr 0
		.amdhsa_user_sgpr_kernarg_segment_ptr 1
		.amdhsa_user_sgpr_dispatch_id 0
		.amdhsa_user_sgpr_flat_scratch_init 0
		.amdhsa_user_sgpr_kernarg_preload_length 0
		.amdhsa_user_sgpr_kernarg_preload_offset 0
		.amdhsa_user_sgpr_private_segment_size 0
		.amdhsa_uses_dynamic_stack 0
		.amdhsa_system_sgpr_private_segment_wavefront_offset 0
		.amdhsa_system_sgpr_workgroup_id_x 1
		.amdhsa_system_sgpr_workgroup_id_y 0
		.amdhsa_system_sgpr_workgroup_id_z 0
		.amdhsa_system_sgpr_workgroup_info 0
		.amdhsa_system_vgpr_workitem_id 0
		.amdhsa_next_free_vgpr 34
		.amdhsa_next_free_sgpr 9
		.amdhsa_accum_offset 36
		.amdhsa_reserve_vcc 1
		.amdhsa_reserve_flat_scratch 0
		.amdhsa_float_round_mode_32 0
		.amdhsa_float_round_mode_16_64 0
		.amdhsa_float_denorm_mode_32 3
		.amdhsa_float_denorm_mode_16_64 3
		.amdhsa_dx10_clamp 1
		.amdhsa_ieee_mode 1
		.amdhsa_fp16_overflow 0
		.amdhsa_tg_split 0
		.amdhsa_exception_fp_ieee_invalid_op 0
		.amdhsa_exception_fp_denorm_src 0
		.amdhsa_exception_fp_ieee_div_zero 0
		.amdhsa_exception_fp_ieee_overflow 0
		.amdhsa_exception_fp_ieee_underflow 0
		.amdhsa_exception_fp_ieee_inexact 0
		.amdhsa_exception_int_div_zero 0
	.end_amdhsa_kernel
	.section	.text._Z6kernelI14subtract_rightLj256ELj8ELb0EJPxS1_jEEvDpT3_,"axG",@progbits,_Z6kernelI14subtract_rightLj256ELj8ELb0EJPxS1_jEEvDpT3_,comdat
.Lfunc_end81:
	.size	_Z6kernelI14subtract_rightLj256ELj8ELb0EJPxS1_jEEvDpT3_, .Lfunc_end81-_Z6kernelI14subtract_rightLj256ELj8ELb0EJPxS1_jEEvDpT3_
                                        ; -- End function
	.section	.AMDGPU.csdata,"",@progbits
; Kernel info:
; codeLenInByte = 668
; NumSgprs: 13
; NumVgprs: 34
; NumAgprs: 0
; TotalNumVgprs: 34
; ScratchSize: 0
; MemoryBound: 0
; FloatMode: 240
; IeeeMode: 1
; LDSByteSize: 4096 bytes/workgroup (compile time only)
; SGPRBlocks: 1
; VGPRBlocks: 4
; NumSGPRsForWavesPerEU: 13
; NumVGPRsForWavesPerEU: 34
; AccumOffset: 36
; Occupancy: 8
; WaveLimiterHint : 1
; COMPUTE_PGM_RSRC2:SCRATCH_EN: 0
; COMPUTE_PGM_RSRC2:USER_SGPR: 6
; COMPUTE_PGM_RSRC2:TRAP_HANDLER: 0
; COMPUTE_PGM_RSRC2:TGID_X_EN: 1
; COMPUTE_PGM_RSRC2:TGID_Y_EN: 0
; COMPUTE_PGM_RSRC2:TGID_Z_EN: 0
; COMPUTE_PGM_RSRC2:TIDIG_COMP_CNT: 0
; COMPUTE_PGM_RSRC3_GFX90A:ACCUM_OFFSET: 8
; COMPUTE_PGM_RSRC3_GFX90A:TG_SPLIT: 0
	.section	.text._Z6kernelI14subtract_rightLj256ELj16ELb0EJPxS1_jEEvDpT3_,"axG",@progbits,_Z6kernelI14subtract_rightLj256ELj16ELb0EJPxS1_jEEvDpT3_,comdat
	.protected	_Z6kernelI14subtract_rightLj256ELj16ELb0EJPxS1_jEEvDpT3_ ; -- Begin function _Z6kernelI14subtract_rightLj256ELj16ELb0EJPxS1_jEEvDpT3_
	.globl	_Z6kernelI14subtract_rightLj256ELj16ELb0EJPxS1_jEEvDpT3_
	.p2align	8
	.type	_Z6kernelI14subtract_rightLj256ELj16ELb0EJPxS1_jEEvDpT3_,@function
_Z6kernelI14subtract_rightLj256ELj16ELb0EJPxS1_jEEvDpT3_: ; @_Z6kernelI14subtract_rightLj256ELj16ELb0EJPxS1_jEEvDpT3_
; %bb.0:
	s_load_dwordx4 s[0:3], s[4:5], 0x0
	s_load_dword s8, s[4:5], 0x10
	s_lshl_b32 s4, s6, 12
	s_mov_b32 s5, 0
	s_lshl_b64 s[4:5], s[4:5], 3
	s_waitcnt lgkmcnt(0)
	s_add_u32 s0, s0, s4
	s_addc_u32 s1, s1, s5
	v_lshlrev_b32_e32 v34, 3, v0
	v_mov_b32_e32 v1, s1
	v_add_co_u32_e32 v32, vcc, s0, v34
	v_addc_co_u32_e32 v1, vcc, 0, v1, vcc
	s_movk_i32 s6, 0x1000
	v_add_co_u32_e32 v12, vcc, s6, v32
	v_addc_co_u32_e32 v13, vcc, 0, v1, vcc
	s_movk_i32 s6, 0x2000
	;; [unrolled: 3-line block ×4, first 2 shown]
	v_add_co_u32_e32 v16, vcc, s6, v32
	global_load_dwordx2 v[2:3], v[36:37], off
	v_addc_co_u32_e32 v17, vcc, 0, v1, vcc
	global_load_dwordx2 v[28:29], v34, s[0:1]
	global_load_dwordx2 v[30:31], v34, s[0:1] offset:2048
	global_load_dwordx2 v[26:27], v[12:13], off offset:2048
	global_load_dwordx2 v[8:9], v[14:15], off offset:2048
	;; [unrolled: 1-line block ×3, first 2 shown]
	global_load_dwordx2 v[10:11], v[16:17], off offset:-4096
	global_load_dwordx2 v[4:5], v[16:17], off
	global_load_dwordx2 v[6:7], v[16:17], off offset:2048
	s_movk_i32 s0, 0x5000
	v_add_co_u32_e32 v16, vcc, s0, v32
	v_addc_co_u32_e32 v17, vcc, 0, v1, vcc
	v_add_co_u32_e32 v22, vcc, 0x6000, v32
	v_addc_co_u32_e32 v23, vcc, 0, v1, vcc
	v_add_co_u32_e32 v38, vcc, 0x7000, v32
	global_load_dwordx2 v[18:19], v[16:17], off
	global_load_dwordx2 v[20:21], v[16:17], off offset:2048
	global_load_dwordx2 v[12:13], v[22:23], off
	global_load_dwordx2 v[14:15], v[22:23], off offset:2048
	v_addc_co_u32_e32 v39, vcc, 0, v1, vcc
	global_load_dwordx2 v[16:17], v[38:39], off
	global_load_dwordx2 v[32:33], v[36:37], off offset:-4096
	global_load_dwordx2 v[22:23], v[38:39], off offset:2048
	s_cmp_eq_u32 s8, 0
	s_cbranch_scc1 .LBB82_5
; %bb.1:
	s_movk_i32 s0, 0xff
	v_cmp_ne_u32_e32 vcc, s0, v0
	v_or_b32_e32 v35, 0x800, v34
	s_branch .LBB82_3
.LBB82_2:                               ;   in Loop: Header=BB82_3 Depth=1
	s_or_b64 exec, exec, s[6:7]
	v_sub_co_u32_e64 v36, s[0:1], v28, v30
	v_subb_co_u32_e64 v37, s[0:1], v29, v31, s[0:1]
	v_sub_co_u32_e64 v38, s[0:1], v30, v32
	v_subb_co_u32_e64 v39, s[0:1], v31, v33, s[0:1]
	;; [unrolled: 2-line block ×13, first 2 shown]
	v_add_co_u32_e64 v28, s[0:1], v36, v28
	v_addc_co_u32_e64 v29, s[0:1], v37, v29, s[0:1]
	v_sub_co_u32_e64 v36, s[0:1], v14, v16
	v_subb_co_u32_e64 v37, s[0:1], v15, v17, s[0:1]
	v_add_co_u32_e64 v30, s[0:1], v38, v30
	v_addc_co_u32_e64 v31, s[0:1], v39, v31, s[0:1]
	v_sub_co_u32_e64 v38, s[0:1], v16, v22
	v_subb_co_u32_e64 v39, s[0:1], v17, v23, s[0:1]
	v_add_co_u32_e64 v32, s[0:1], v40, v32
	v_addc_co_u32_e64 v33, s[0:1], v41, v33, s[0:1]
	v_add_co_u32_e64 v26, s[0:1], v42, v26
	v_addc_co_u32_e64 v27, s[0:1], v43, v27, s[0:1]
	;; [unrolled: 2-line block ×13, first 2 shown]
	v_add_co_u32_e64 v22, s[0:1], v0, v22
	s_add_i32 s8, s8, -1
	v_addc_co_u32_e64 v23, s[0:1], v1, v23, s[0:1]
	s_cmp_lg_u32 s8, 0
	s_barrier
	s_cbranch_scc0 .LBB82_5
.LBB82_3:                               ; =>This Inner Loop Header: Depth=1
	s_waitcnt vmcnt(0)
	v_pk_mov_b32 v[0:1], v[22:23], v[22:23] op_sel:[0,1]
	ds_write_b64 v34, v[28:29] offset:2048
	s_waitcnt lgkmcnt(0)
	s_barrier
	s_and_saveexec_b64 s[6:7], vcc
	s_cbranch_execz .LBB82_2
; %bb.4:                                ;   in Loop: Header=BB82_3 Depth=1
	ds_read_b64 v[0:1], v35 offset:8
	s_waitcnt lgkmcnt(0)
	v_sub_co_u32_e64 v0, s[0:1], v22, v0
	v_subb_co_u32_e64 v1, s[0:1], v23, v1, s[0:1]
	s_branch .LBB82_2
.LBB82_5:
	s_add_u32 s0, s2, s4
	s_addc_u32 s1, s3, s5
	v_mov_b32_e32 v0, s1
	v_add_co_u32_e32 v35, vcc, s0, v34
	v_addc_co_u32_e32 v36, vcc, 0, v0, vcc
	v_add_co_u32_e32 v0, vcc, 0x1000, v35
	v_addc_co_u32_e32 v1, vcc, 0, v36, vcc
	s_waitcnt vmcnt(14)
	global_store_dwordx2 v34, v[28:29], s[0:1]
	s_waitcnt vmcnt(14)
	global_store_dwordx2 v34, v[30:31], s[0:1] offset:2048
	s_waitcnt vmcnt(3)
	global_store_dwordx2 v[0:1], v[32:33], off
	global_store_dwordx2 v[0:1], v[26:27], off offset:2048
	v_add_co_u32_e32 v0, vcc, 0x2000, v35
	v_addc_co_u32_e32 v1, vcc, 0, v36, vcc
	global_store_dwordx2 v[0:1], v[2:3], off
	global_store_dwordx2 v[0:1], v[24:25], off offset:2048
	v_add_co_u32_e32 v0, vcc, 0x3000, v35
	v_addc_co_u32_e32 v1, vcc, 0, v36, vcc
	;; [unrolled: 4-line block ×6, first 2 shown]
	global_store_dwordx2 v[0:1], v[16:17], off
	s_waitcnt vmcnt(15)
	global_store_dwordx2 v[0:1], v[22:23], off offset:2048
	s_endpgm
	.section	.rodata,"a",@progbits
	.p2align	6, 0x0
	.amdhsa_kernel _Z6kernelI14subtract_rightLj256ELj16ELb0EJPxS1_jEEvDpT3_
		.amdhsa_group_segment_fixed_size 4096
		.amdhsa_private_segment_fixed_size 0
		.amdhsa_kernarg_size 20
		.amdhsa_user_sgpr_count 6
		.amdhsa_user_sgpr_private_segment_buffer 1
		.amdhsa_user_sgpr_dispatch_ptr 0
		.amdhsa_user_sgpr_queue_ptr 0
		.amdhsa_user_sgpr_kernarg_segment_ptr 1
		.amdhsa_user_sgpr_dispatch_id 0
		.amdhsa_user_sgpr_flat_scratch_init 0
		.amdhsa_user_sgpr_kernarg_preload_length 0
		.amdhsa_user_sgpr_kernarg_preload_offset 0
		.amdhsa_user_sgpr_private_segment_size 0
		.amdhsa_uses_dynamic_stack 0
		.amdhsa_system_sgpr_private_segment_wavefront_offset 0
		.amdhsa_system_sgpr_workgroup_id_x 1
		.amdhsa_system_sgpr_workgroup_id_y 0
		.amdhsa_system_sgpr_workgroup_id_z 0
		.amdhsa_system_sgpr_workgroup_info 0
		.amdhsa_system_vgpr_workitem_id 0
		.amdhsa_next_free_vgpr 62
		.amdhsa_next_free_sgpr 9
		.amdhsa_accum_offset 64
		.amdhsa_reserve_vcc 1
		.amdhsa_reserve_flat_scratch 0
		.amdhsa_float_round_mode_32 0
		.amdhsa_float_round_mode_16_64 0
		.amdhsa_float_denorm_mode_32 3
		.amdhsa_float_denorm_mode_16_64 3
		.amdhsa_dx10_clamp 1
		.amdhsa_ieee_mode 1
		.amdhsa_fp16_overflow 0
		.amdhsa_tg_split 0
		.amdhsa_exception_fp_ieee_invalid_op 0
		.amdhsa_exception_fp_denorm_src 0
		.amdhsa_exception_fp_ieee_div_zero 0
		.amdhsa_exception_fp_ieee_overflow 0
		.amdhsa_exception_fp_ieee_underflow 0
		.amdhsa_exception_fp_ieee_inexact 0
		.amdhsa_exception_int_div_zero 0
	.end_amdhsa_kernel
	.section	.text._Z6kernelI14subtract_rightLj256ELj16ELb0EJPxS1_jEEvDpT3_,"axG",@progbits,_Z6kernelI14subtract_rightLj256ELj16ELb0EJPxS1_jEEvDpT3_,comdat
.Lfunc_end82:
	.size	_Z6kernelI14subtract_rightLj256ELj16ELb0EJPxS1_jEEvDpT3_, .Lfunc_end82-_Z6kernelI14subtract_rightLj256ELj16ELb0EJPxS1_jEEvDpT3_
                                        ; -- End function
	.section	.AMDGPU.csdata,"",@progbits
; Kernel info:
; codeLenInByte = 1132
; NumSgprs: 13
; NumVgprs: 62
; NumAgprs: 0
; TotalNumVgprs: 62
; ScratchSize: 0
; MemoryBound: 0
; FloatMode: 240
; IeeeMode: 1
; LDSByteSize: 4096 bytes/workgroup (compile time only)
; SGPRBlocks: 1
; VGPRBlocks: 7
; NumSGPRsForWavesPerEU: 13
; NumVGPRsForWavesPerEU: 62
; AccumOffset: 64
; Occupancy: 8
; WaveLimiterHint : 1
; COMPUTE_PGM_RSRC2:SCRATCH_EN: 0
; COMPUTE_PGM_RSRC2:USER_SGPR: 6
; COMPUTE_PGM_RSRC2:TRAP_HANDLER: 0
; COMPUTE_PGM_RSRC2:TGID_X_EN: 1
; COMPUTE_PGM_RSRC2:TGID_Y_EN: 0
; COMPUTE_PGM_RSRC2:TGID_Z_EN: 0
; COMPUTE_PGM_RSRC2:TIDIG_COMP_CNT: 0
; COMPUTE_PGM_RSRC3_GFX90A:ACCUM_OFFSET: 15
; COMPUTE_PGM_RSRC3_GFX90A:TG_SPLIT: 0
	.section	.text._Z6kernelI14subtract_rightLj256ELj32ELb0EJPxS1_jEEvDpT3_,"axG",@progbits,_Z6kernelI14subtract_rightLj256ELj32ELb0EJPxS1_jEEvDpT3_,comdat
	.protected	_Z6kernelI14subtract_rightLj256ELj32ELb0EJPxS1_jEEvDpT3_ ; -- Begin function _Z6kernelI14subtract_rightLj256ELj32ELb0EJPxS1_jEEvDpT3_
	.globl	_Z6kernelI14subtract_rightLj256ELj32ELb0EJPxS1_jEEvDpT3_
	.p2align	8
	.type	_Z6kernelI14subtract_rightLj256ELj32ELb0EJPxS1_jEEvDpT3_,@function
_Z6kernelI14subtract_rightLj256ELj32ELb0EJPxS1_jEEvDpT3_: ; @_Z6kernelI14subtract_rightLj256ELj32ELb0EJPxS1_jEEvDpT3_
; %bb.0:
	s_load_dwordx4 s[0:3], s[4:5], 0x0
	s_load_dword s8, s[4:5], 0x10
	s_lshl_b32 s4, s6, 13
	s_mov_b32 s5, 0
	s_lshl_b64 s[4:5], s[4:5], 3
	s_waitcnt lgkmcnt(0)
	s_add_u32 s0, s0, s4
	s_addc_u32 s1, s1, s5
	v_lshlrev_b32_e32 v66, 3, v0
	v_mov_b32_e32 v1, s1
	v_add_co_u32_e32 v52, vcc, s0, v66
	v_addc_co_u32_e32 v1, vcc, 0, v1, vcc
	s_movk_i32 s6, 0x1000
	v_add_co_u32_e32 v68, vcc, s6, v52
	v_addc_co_u32_e32 v69, vcc, 0, v1, vcc
	s_movk_i32 s6, 0x2000
	;; [unrolled: 3-line block ×6, first 2 shown]
	global_load_dwordx2 v[6:7], v[8:9], off offset:2048
	global_load_dwordx2 v[2:3], v[72:73], off
	global_load_dwordx2 v[4:5], v[72:73], off offset:2048
	v_add_co_u32_e32 v8, vcc, s6, v52
	v_addc_co_u32_e32 v9, vcc, 0, v1, vcc
	s_movk_i32 s6, 0x7000
	v_add_co_u32_e32 v38, vcc, s6, v52
	v_addc_co_u32_e32 v39, vcc, 0, v1, vcc
	s_mov_b32 s6, 0x8000
	v_add_co_u32_e32 v22, vcc, s6, v52
	v_addc_co_u32_e32 v23, vcc, 0, v1, vcc
	s_mov_b32 s6, 0x9000
	;; [unrolled: 3-line block ×6, first 2 shown]
	v_add_co_u32_e32 v74, vcc, s6, v52
	v_addc_co_u32_e32 v75, vcc, 0, v1, vcc
	v_add_co_u32_e32 v76, vcc, 0xe000, v52
	v_addc_co_u32_e32 v77, vcc, 0, v1, vcc
	v_add_co_u32_e32 v78, vcc, 0xf000, v52
	global_load_dwordx2 v[26:27], v[8:9], off offset:-4096
	global_load_dwordx2 v[12:13], v[8:9], off
	global_load_dwordx2 v[14:15], v[8:9], off offset:2048
	global_load_dwordx2 v[10:11], v[22:23], off offset:-4096
	global_load_dwordx2 v[18:19], v[22:23], off
	global_load_dwordx2 v[20:21], v[22:23], off offset:2048
	global_load_dwordx2 v[16:17], v[42:43], off offset:-4096
	s_nop 0
	global_load_dwordx2 v[8:9], v[42:43], off
	global_load_dwordx2 v[50:51], v[36:37], off offset:2048
	global_load_dwordx2 v[48:49], v[38:39], off offset:2048
	;; [unrolled: 1-line block ×5, first 2 shown]
	global_load_dwordx2 v[30:31], v[46:47], off offset:-4096
	global_load_dwordx2 v[22:23], v[46:47], off
	global_load_dwordx2 v[24:25], v[46:47], off offset:2048
	v_addc_co_u32_e32 v79, vcc, 0, v1, vcc
	global_load_dwordx2 v[44:45], v[74:75], off
	global_load_dwordx2 v[46:47], v[74:75], off offset:2048
	global_load_dwordx2 v[36:37], v[76:77], off
	global_load_dwordx2 v[38:39], v[76:77], off offset:2048
	global_load_dwordx2 v[52:53], v[72:73], off offset:-4096
	global_load_dwordx2 v[54:55], v[70:71], off offset:2048
	global_load_dwordx2 v[40:41], v[78:79], off
	global_load_dwordx2 v[56:57], v[70:71], off
	global_load_dwordx2 v[58:59], v[70:71], off offset:-4096
	global_load_dwordx2 v[42:43], v[78:79], off offset:2048
	global_load_dwordx2 v[62:63], v66, s[0:1]
	global_load_dwordx2 v[60:61], v[68:69], off offset:2048
	global_load_dwordx2 v[64:65], v66, s[0:1] offset:2048
	s_cmp_eq_u32 s8, 0
	s_cbranch_scc1 .LBB83_5
; %bb.1:
	s_movk_i32 s0, 0xff
	v_cmp_ne_u32_e32 vcc, s0, v0
	v_or_b32_e32 v67, 0x800, v66
	s_branch .LBB83_3
.LBB83_2:                               ;   in Loop: Header=BB83_3 Depth=1
	s_or_b64 exec, exec, s[6:7]
	s_waitcnt vmcnt(0)
	v_sub_co_u32_e64 v68, s[0:1], v62, v64
	v_subb_co_u32_e64 v69, s[0:1], v63, v65, s[0:1]
	v_add_co_u32_e64 v62, s[0:1], v68, v62
	v_addc_co_u32_e64 v63, s[0:1], v69, v63, s[0:1]
	v_sub_co_u32_e64 v68, s[0:1], v64, v58
	v_subb_co_u32_e64 v69, s[0:1], v65, v59, s[0:1]
	v_add_co_u32_e64 v64, s[0:1], v68, v64
	v_addc_co_u32_e64 v65, s[0:1], v69, v65, s[0:1]
	;; [unrolled: 4-line block ×31, first 2 shown]
	v_add_co_u32_e64 v42, s[0:1], v0, v42
	s_add_i32 s8, s8, -1
	v_addc_co_u32_e64 v43, s[0:1], v1, v43, s[0:1]
	s_cmp_lg_u32 s8, 0
	s_barrier
	s_cbranch_scc0 .LBB83_5
.LBB83_3:                               ; =>This Inner Loop Header: Depth=1
	s_waitcnt vmcnt(3)
	v_pk_mov_b32 v[0:1], v[42:43], v[42:43] op_sel:[0,1]
	s_waitcnt vmcnt(2)
	ds_write_b64 v66, v[62:63] offset:2048
	s_waitcnt lgkmcnt(0)
	s_barrier
	s_and_saveexec_b64 s[6:7], vcc
	s_cbranch_execz .LBB83_2
; %bb.4:                                ;   in Loop: Header=BB83_3 Depth=1
	ds_read_b64 v[0:1], v67 offset:8
	s_waitcnt lgkmcnt(0)
	v_sub_co_u32_e64 v0, s[0:1], v42, v0
	v_subb_co_u32_e64 v1, s[0:1], v43, v1, s[0:1]
	s_branch .LBB83_2
.LBB83_5:
	s_add_u32 s0, s2, s4
	s_addc_u32 s1, s3, s5
	v_mov_b32_e32 v0, s1
	v_add_co_u32_e32 v67, vcc, s0, v66
	v_addc_co_u32_e32 v68, vcc, 0, v0, vcc
	v_add_co_u32_e32 v0, vcc, 0x1000, v67
	v_addc_co_u32_e32 v1, vcc, 0, v68, vcc
	s_waitcnt vmcnt(2)
	global_store_dwordx2 v66, v[62:63], s[0:1]
	s_waitcnt vmcnt(1)
	global_store_dwordx2 v66, v[64:65], s[0:1] offset:2048
	global_store_dwordx2 v[0:1], v[58:59], off
	global_store_dwordx2 v[0:1], v[60:61], off offset:2048
	v_add_co_u32_e32 v0, vcc, 0x2000, v67
	v_addc_co_u32_e32 v1, vcc, 0, v68, vcc
	global_store_dwordx2 v[0:1], v[56:57], off
	global_store_dwordx2 v[0:1], v[54:55], off offset:2048
	v_add_co_u32_e32 v0, vcc, 0x3000, v67
	v_addc_co_u32_e32 v1, vcc, 0, v68, vcc
	;; [unrolled: 4-line block ×14, first 2 shown]
	global_store_dwordx2 v[0:1], v[40:41], off
	global_store_dwordx2 v[0:1], v[42:43], off offset:2048
	s_endpgm
	.section	.rodata,"a",@progbits
	.p2align	6, 0x0
	.amdhsa_kernel _Z6kernelI14subtract_rightLj256ELj32ELb0EJPxS1_jEEvDpT3_
		.amdhsa_group_segment_fixed_size 4096
		.amdhsa_private_segment_fixed_size 0
		.amdhsa_kernarg_size 20
		.amdhsa_user_sgpr_count 6
		.amdhsa_user_sgpr_private_segment_buffer 1
		.amdhsa_user_sgpr_dispatch_ptr 0
		.amdhsa_user_sgpr_queue_ptr 0
		.amdhsa_user_sgpr_kernarg_segment_ptr 1
		.amdhsa_user_sgpr_dispatch_id 0
		.amdhsa_user_sgpr_flat_scratch_init 0
		.amdhsa_user_sgpr_kernarg_preload_length 0
		.amdhsa_user_sgpr_kernarg_preload_offset 0
		.amdhsa_user_sgpr_private_segment_size 0
		.amdhsa_uses_dynamic_stack 0
		.amdhsa_system_sgpr_private_segment_wavefront_offset 0
		.amdhsa_system_sgpr_workgroup_id_x 1
		.amdhsa_system_sgpr_workgroup_id_y 0
		.amdhsa_system_sgpr_workgroup_id_z 0
		.amdhsa_system_sgpr_workgroup_info 0
		.amdhsa_system_vgpr_workitem_id 0
		.amdhsa_next_free_vgpr 80
		.amdhsa_next_free_sgpr 9
		.amdhsa_accum_offset 80
		.amdhsa_reserve_vcc 1
		.amdhsa_reserve_flat_scratch 0
		.amdhsa_float_round_mode_32 0
		.amdhsa_float_round_mode_16_64 0
		.amdhsa_float_denorm_mode_32 3
		.amdhsa_float_denorm_mode_16_64 3
		.amdhsa_dx10_clamp 1
		.amdhsa_ieee_mode 1
		.amdhsa_fp16_overflow 0
		.amdhsa_tg_split 0
		.amdhsa_exception_fp_ieee_invalid_op 0
		.amdhsa_exception_fp_denorm_src 0
		.amdhsa_exception_fp_ieee_div_zero 0
		.amdhsa_exception_fp_ieee_overflow 0
		.amdhsa_exception_fp_ieee_underflow 0
		.amdhsa_exception_fp_ieee_inexact 0
		.amdhsa_exception_int_div_zero 0
	.end_amdhsa_kernel
	.section	.text._Z6kernelI14subtract_rightLj256ELj32ELb0EJPxS1_jEEvDpT3_,"axG",@progbits,_Z6kernelI14subtract_rightLj256ELj32ELb0EJPxS1_jEEvDpT3_,comdat
.Lfunc_end83:
	.size	_Z6kernelI14subtract_rightLj256ELj32ELb0EJPxS1_jEEvDpT3_, .Lfunc_end83-_Z6kernelI14subtract_rightLj256ELj32ELb0EJPxS1_jEEvDpT3_
                                        ; -- End function
	.section	.AMDGPU.csdata,"",@progbits
; Kernel info:
; codeLenInByte = 2120
; NumSgprs: 13
; NumVgprs: 80
; NumAgprs: 0
; TotalNumVgprs: 80
; ScratchSize: 0
; MemoryBound: 0
; FloatMode: 240
; IeeeMode: 1
; LDSByteSize: 4096 bytes/workgroup (compile time only)
; SGPRBlocks: 1
; VGPRBlocks: 9
; NumSGPRsForWavesPerEU: 13
; NumVGPRsForWavesPerEU: 80
; AccumOffset: 80
; Occupancy: 6
; WaveLimiterHint : 1
; COMPUTE_PGM_RSRC2:SCRATCH_EN: 0
; COMPUTE_PGM_RSRC2:USER_SGPR: 6
; COMPUTE_PGM_RSRC2:TRAP_HANDLER: 0
; COMPUTE_PGM_RSRC2:TGID_X_EN: 1
; COMPUTE_PGM_RSRC2:TGID_Y_EN: 0
; COMPUTE_PGM_RSRC2:TGID_Z_EN: 0
; COMPUTE_PGM_RSRC2:TIDIG_COMP_CNT: 0
; COMPUTE_PGM_RSRC3_GFX90A:ACCUM_OFFSET: 19
; COMPUTE_PGM_RSRC3_GFX90A:TG_SPLIT: 0
	.section	.text._Z6kernelI14subtract_rightLj256ELj1ELb0EJPdS1_jEEvDpT3_,"axG",@progbits,_Z6kernelI14subtract_rightLj256ELj1ELb0EJPdS1_jEEvDpT3_,comdat
	.protected	_Z6kernelI14subtract_rightLj256ELj1ELb0EJPdS1_jEEvDpT3_ ; -- Begin function _Z6kernelI14subtract_rightLj256ELj1ELb0EJPdS1_jEEvDpT3_
	.globl	_Z6kernelI14subtract_rightLj256ELj1ELb0EJPdS1_jEEvDpT3_
	.p2align	8
	.type	_Z6kernelI14subtract_rightLj256ELj1ELb0EJPdS1_jEEvDpT3_,@function
_Z6kernelI14subtract_rightLj256ELj1ELb0EJPdS1_jEEvDpT3_: ; @_Z6kernelI14subtract_rightLj256ELj1ELb0EJPdS1_jEEvDpT3_
; %bb.0:
	s_load_dwordx4 s[0:3], s[4:5], 0x0
	s_load_dword s7, s[4:5], 0x10
	s_lshl_b32 s4, s6, 8
	s_mov_b32 s5, 0
	s_lshl_b64 s[4:5], s[4:5], 3
	s_waitcnt lgkmcnt(0)
	s_add_u32 s0, s0, s4
	s_addc_u32 s1, s1, s5
	v_lshlrev_b32_e32 v4, 3, v0
	global_load_dwordx2 v[2:3], v4, s[0:1]
	s_cmp_eq_u32 s7, 0
	s_cbranch_scc1 .LBB84_5
; %bb.1:
	s_movk_i32 s0, 0xff
	v_cmp_ne_u32_e32 vcc, s0, v0
	v_or_b32_e32 v5, 0x800, v4
	s_branch .LBB84_3
.LBB84_2:                               ;   in Loop: Header=BB84_3 Depth=1
	s_or_b64 exec, exec, s[0:1]
	s_add_i32 s7, s7, -1
	v_add_f64 v[2:3], v[2:3], v[0:1]
	s_cmp_lg_u32 s7, 0
	s_barrier
	s_cbranch_scc0 .LBB84_5
.LBB84_3:                               ; =>This Inner Loop Header: Depth=1
	s_waitcnt vmcnt(0)
	v_pk_mov_b32 v[0:1], v[2:3], v[2:3] op_sel:[0,1]
	ds_write_b64 v4, v[2:3] offset:2048
	s_waitcnt lgkmcnt(0)
	s_barrier
	s_and_saveexec_b64 s[0:1], vcc
	s_cbranch_execz .LBB84_2
; %bb.4:                                ;   in Loop: Header=BB84_3 Depth=1
	ds_read_b64 v[0:1], v5 offset:8
	s_waitcnt lgkmcnt(0)
	v_add_f64 v[0:1], v[2:3], -v[0:1]
	s_branch .LBB84_2
.LBB84_5:
	s_add_u32 s0, s2, s4
	s_addc_u32 s1, s3, s5
	s_waitcnt vmcnt(0)
	global_store_dwordx2 v4, v[2:3], s[0:1]
	s_endpgm
	.section	.rodata,"a",@progbits
	.p2align	6, 0x0
	.amdhsa_kernel _Z6kernelI14subtract_rightLj256ELj1ELb0EJPdS1_jEEvDpT3_
		.amdhsa_group_segment_fixed_size 4096
		.amdhsa_private_segment_fixed_size 0
		.amdhsa_kernarg_size 20
		.amdhsa_user_sgpr_count 6
		.amdhsa_user_sgpr_private_segment_buffer 1
		.amdhsa_user_sgpr_dispatch_ptr 0
		.amdhsa_user_sgpr_queue_ptr 0
		.amdhsa_user_sgpr_kernarg_segment_ptr 1
		.amdhsa_user_sgpr_dispatch_id 0
		.amdhsa_user_sgpr_flat_scratch_init 0
		.amdhsa_user_sgpr_kernarg_preload_length 0
		.amdhsa_user_sgpr_kernarg_preload_offset 0
		.amdhsa_user_sgpr_private_segment_size 0
		.amdhsa_uses_dynamic_stack 0
		.amdhsa_system_sgpr_private_segment_wavefront_offset 0
		.amdhsa_system_sgpr_workgroup_id_x 1
		.amdhsa_system_sgpr_workgroup_id_y 0
		.amdhsa_system_sgpr_workgroup_id_z 0
		.amdhsa_system_sgpr_workgroup_info 0
		.amdhsa_system_vgpr_workitem_id 0
		.amdhsa_next_free_vgpr 6
		.amdhsa_next_free_sgpr 8
		.amdhsa_accum_offset 8
		.amdhsa_reserve_vcc 1
		.amdhsa_reserve_flat_scratch 0
		.amdhsa_float_round_mode_32 0
		.amdhsa_float_round_mode_16_64 0
		.amdhsa_float_denorm_mode_32 3
		.amdhsa_float_denorm_mode_16_64 3
		.amdhsa_dx10_clamp 1
		.amdhsa_ieee_mode 1
		.amdhsa_fp16_overflow 0
		.amdhsa_tg_split 0
		.amdhsa_exception_fp_ieee_invalid_op 0
		.amdhsa_exception_fp_denorm_src 0
		.amdhsa_exception_fp_ieee_div_zero 0
		.amdhsa_exception_fp_ieee_overflow 0
		.amdhsa_exception_fp_ieee_underflow 0
		.amdhsa_exception_fp_ieee_inexact 0
		.amdhsa_exception_int_div_zero 0
	.end_amdhsa_kernel
	.section	.text._Z6kernelI14subtract_rightLj256ELj1ELb0EJPdS1_jEEvDpT3_,"axG",@progbits,_Z6kernelI14subtract_rightLj256ELj1ELb0EJPdS1_jEEvDpT3_,comdat
.Lfunc_end84:
	.size	_Z6kernelI14subtract_rightLj256ELj1ELb0EJPdS1_jEEvDpT3_, .Lfunc_end84-_Z6kernelI14subtract_rightLj256ELj1ELb0EJPdS1_jEEvDpT3_
                                        ; -- End function
	.section	.AMDGPU.csdata,"",@progbits
; Kernel info:
; codeLenInByte = 192
; NumSgprs: 12
; NumVgprs: 6
; NumAgprs: 0
; TotalNumVgprs: 6
; ScratchSize: 0
; MemoryBound: 0
; FloatMode: 240
; IeeeMode: 1
; LDSByteSize: 4096 bytes/workgroup (compile time only)
; SGPRBlocks: 1
; VGPRBlocks: 0
; NumSGPRsForWavesPerEU: 12
; NumVGPRsForWavesPerEU: 6
; AccumOffset: 8
; Occupancy: 8
; WaveLimiterHint : 0
; COMPUTE_PGM_RSRC2:SCRATCH_EN: 0
; COMPUTE_PGM_RSRC2:USER_SGPR: 6
; COMPUTE_PGM_RSRC2:TRAP_HANDLER: 0
; COMPUTE_PGM_RSRC2:TGID_X_EN: 1
; COMPUTE_PGM_RSRC2:TGID_Y_EN: 0
; COMPUTE_PGM_RSRC2:TGID_Z_EN: 0
; COMPUTE_PGM_RSRC2:TIDIG_COMP_CNT: 0
; COMPUTE_PGM_RSRC3_GFX90A:ACCUM_OFFSET: 1
; COMPUTE_PGM_RSRC3_GFX90A:TG_SPLIT: 0
	.section	.text._Z6kernelI14subtract_rightLj256ELj3ELb0EJPdS1_jEEvDpT3_,"axG",@progbits,_Z6kernelI14subtract_rightLj256ELj3ELb0EJPdS1_jEEvDpT3_,comdat
	.protected	_Z6kernelI14subtract_rightLj256ELj3ELb0EJPdS1_jEEvDpT3_ ; -- Begin function _Z6kernelI14subtract_rightLj256ELj3ELb0EJPdS1_jEEvDpT3_
	.globl	_Z6kernelI14subtract_rightLj256ELj3ELb0EJPdS1_jEEvDpT3_
	.p2align	8
	.type	_Z6kernelI14subtract_rightLj256ELj3ELb0EJPdS1_jEEvDpT3_,@function
_Z6kernelI14subtract_rightLj256ELj3ELb0EJPdS1_jEEvDpT3_: ; @_Z6kernelI14subtract_rightLj256ELj3ELb0EJPdS1_jEEvDpT3_
; %bb.0:
	s_load_dwordx4 s[0:3], s[4:5], 0x0
	s_load_dword s7, s[4:5], 0x10
	s_mul_i32 s4, s6, 0x300
	s_mov_b32 s5, 0
	s_lshl_b64 s[4:5], s[4:5], 3
	s_waitcnt lgkmcnt(0)
	s_add_u32 s0, s0, s4
	s_addc_u32 s1, s1, s5
	v_lshlrev_b32_e32 v8, 3, v0
	v_mov_b32_e32 v1, s1
	v_add_co_u32_e32 v2, vcc, s0, v8
	v_addc_co_u32_e32 v1, vcc, 0, v1, vcc
	v_add_co_u32_e32 v10, vcc, 0x1000, v2
	v_addc_co_u32_e32 v11, vcc, 0, v1, vcc
	global_load_dwordx2 v[6:7], v8, s[0:1]
	global_load_dwordx2 v[4:5], v8, s[0:1] offset:2048
	global_load_dwordx2 v[2:3], v[10:11], off
	s_cmp_eq_u32 s7, 0
	s_cbranch_scc1 .LBB85_5
; %bb.1:
	s_movk_i32 s0, 0xff
	v_cmp_ne_u32_e32 vcc, s0, v0
	v_or_b32_e32 v9, 0x800, v8
	s_branch .LBB85_3
.LBB85_2:                               ;   in Loop: Header=BB85_3 Depth=1
	s_or_b64 exec, exec, s[0:1]
	v_add_f64 v[10:11], v[6:7], -v[4:5]
	v_add_f64 v[12:13], v[4:5], -v[2:3]
	s_add_i32 s7, s7, -1
	v_add_f64 v[6:7], v[6:7], v[10:11]
	v_add_f64 v[4:5], v[4:5], v[12:13]
	;; [unrolled: 1-line block ×3, first 2 shown]
	s_cmp_lg_u32 s7, 0
	s_barrier
	s_cbranch_scc0 .LBB85_5
.LBB85_3:                               ; =>This Inner Loop Header: Depth=1
	s_waitcnt vmcnt(0)
	v_pk_mov_b32 v[0:1], v[2:3], v[2:3] op_sel:[0,1]
	ds_write_b64 v8, v[6:7] offset:2048
	s_waitcnt lgkmcnt(0)
	s_barrier
	s_and_saveexec_b64 s[0:1], vcc
	s_cbranch_execz .LBB85_2
; %bb.4:                                ;   in Loop: Header=BB85_3 Depth=1
	ds_read_b64 v[0:1], v9 offset:8
	s_waitcnt lgkmcnt(0)
	v_add_f64 v[0:1], v[2:3], -v[0:1]
	s_branch .LBB85_2
.LBB85_5:
	s_add_u32 s0, s2, s4
	s_addc_u32 s1, s3, s5
	v_mov_b32_e32 v0, s1
	v_add_co_u32_e32 v1, vcc, s0, v8
	v_addc_co_u32_e32 v9, vcc, 0, v0, vcc
	v_add_co_u32_e32 v0, vcc, 0x1000, v1
	v_addc_co_u32_e32 v1, vcc, 0, v9, vcc
	s_waitcnt vmcnt(2)
	global_store_dwordx2 v8, v[6:7], s[0:1]
	s_waitcnt vmcnt(2)
	global_store_dwordx2 v8, v[4:5], s[0:1] offset:2048
	s_waitcnt vmcnt(2)
	global_store_dwordx2 v[0:1], v[2:3], off
	s_endpgm
	.section	.rodata,"a",@progbits
	.p2align	6, 0x0
	.amdhsa_kernel _Z6kernelI14subtract_rightLj256ELj3ELb0EJPdS1_jEEvDpT3_
		.amdhsa_group_segment_fixed_size 4096
		.amdhsa_private_segment_fixed_size 0
		.amdhsa_kernarg_size 20
		.amdhsa_user_sgpr_count 6
		.amdhsa_user_sgpr_private_segment_buffer 1
		.amdhsa_user_sgpr_dispatch_ptr 0
		.amdhsa_user_sgpr_queue_ptr 0
		.amdhsa_user_sgpr_kernarg_segment_ptr 1
		.amdhsa_user_sgpr_dispatch_id 0
		.amdhsa_user_sgpr_flat_scratch_init 0
		.amdhsa_user_sgpr_kernarg_preload_length 0
		.amdhsa_user_sgpr_kernarg_preload_offset 0
		.amdhsa_user_sgpr_private_segment_size 0
		.amdhsa_uses_dynamic_stack 0
		.amdhsa_system_sgpr_private_segment_wavefront_offset 0
		.amdhsa_system_sgpr_workgroup_id_x 1
		.amdhsa_system_sgpr_workgroup_id_y 0
		.amdhsa_system_sgpr_workgroup_id_z 0
		.amdhsa_system_sgpr_workgroup_info 0
		.amdhsa_system_vgpr_workitem_id 0
		.amdhsa_next_free_vgpr 14
		.amdhsa_next_free_sgpr 8
		.amdhsa_accum_offset 16
		.amdhsa_reserve_vcc 1
		.amdhsa_reserve_flat_scratch 0
		.amdhsa_float_round_mode_32 0
		.amdhsa_float_round_mode_16_64 0
		.amdhsa_float_denorm_mode_32 3
		.amdhsa_float_denorm_mode_16_64 3
		.amdhsa_dx10_clamp 1
		.amdhsa_ieee_mode 1
		.amdhsa_fp16_overflow 0
		.amdhsa_tg_split 0
		.amdhsa_exception_fp_ieee_invalid_op 0
		.amdhsa_exception_fp_denorm_src 0
		.amdhsa_exception_fp_ieee_div_zero 0
		.amdhsa_exception_fp_ieee_overflow 0
		.amdhsa_exception_fp_ieee_underflow 0
		.amdhsa_exception_fp_ieee_inexact 0
		.amdhsa_exception_int_div_zero 0
	.end_amdhsa_kernel
	.section	.text._Z6kernelI14subtract_rightLj256ELj3ELb0EJPdS1_jEEvDpT3_,"axG",@progbits,_Z6kernelI14subtract_rightLj256ELj3ELb0EJPdS1_jEEvDpT3_,comdat
.Lfunc_end85:
	.size	_Z6kernelI14subtract_rightLj256ELj3ELb0EJPdS1_jEEvDpT3_, .Lfunc_end85-_Z6kernelI14subtract_rightLj256ELj3ELb0EJPdS1_jEEvDpT3_
                                        ; -- End function
	.section	.AMDGPU.csdata,"",@progbits
; Kernel info:
; codeLenInByte = 316
; NumSgprs: 12
; NumVgprs: 14
; NumAgprs: 0
; TotalNumVgprs: 14
; ScratchSize: 0
; MemoryBound: 0
; FloatMode: 240
; IeeeMode: 1
; LDSByteSize: 4096 bytes/workgroup (compile time only)
; SGPRBlocks: 1
; VGPRBlocks: 1
; NumSGPRsForWavesPerEU: 12
; NumVGPRsForWavesPerEU: 14
; AccumOffset: 16
; Occupancy: 8
; WaveLimiterHint : 1
; COMPUTE_PGM_RSRC2:SCRATCH_EN: 0
; COMPUTE_PGM_RSRC2:USER_SGPR: 6
; COMPUTE_PGM_RSRC2:TRAP_HANDLER: 0
; COMPUTE_PGM_RSRC2:TGID_X_EN: 1
; COMPUTE_PGM_RSRC2:TGID_Y_EN: 0
; COMPUTE_PGM_RSRC2:TGID_Z_EN: 0
; COMPUTE_PGM_RSRC2:TIDIG_COMP_CNT: 0
; COMPUTE_PGM_RSRC3_GFX90A:ACCUM_OFFSET: 3
; COMPUTE_PGM_RSRC3_GFX90A:TG_SPLIT: 0
	.section	.text._Z6kernelI14subtract_rightLj256ELj4ELb0EJPdS1_jEEvDpT3_,"axG",@progbits,_Z6kernelI14subtract_rightLj256ELj4ELb0EJPdS1_jEEvDpT3_,comdat
	.protected	_Z6kernelI14subtract_rightLj256ELj4ELb0EJPdS1_jEEvDpT3_ ; -- Begin function _Z6kernelI14subtract_rightLj256ELj4ELb0EJPdS1_jEEvDpT3_
	.globl	_Z6kernelI14subtract_rightLj256ELj4ELb0EJPdS1_jEEvDpT3_
	.p2align	8
	.type	_Z6kernelI14subtract_rightLj256ELj4ELb0EJPdS1_jEEvDpT3_,@function
_Z6kernelI14subtract_rightLj256ELj4ELb0EJPdS1_jEEvDpT3_: ; @_Z6kernelI14subtract_rightLj256ELj4ELb0EJPdS1_jEEvDpT3_
; %bb.0:
	s_load_dwordx4 s[0:3], s[4:5], 0x0
	s_load_dword s7, s[4:5], 0x10
	s_lshl_b32 s4, s6, 10
	s_mov_b32 s5, 0
	s_lshl_b64 s[4:5], s[4:5], 3
	s_waitcnt lgkmcnt(0)
	s_add_u32 s0, s0, s4
	s_addc_u32 s1, s1, s5
	v_lshlrev_b32_e32 v10, 3, v0
	v_mov_b32_e32 v1, s1
	v_add_co_u32_e32 v2, vcc, s0, v10
	v_addc_co_u32_e32 v1, vcc, 0, v1, vcc
	v_add_co_u32_e32 v12, vcc, 0x1000, v2
	v_addc_co_u32_e32 v13, vcc, 0, v1, vcc
	global_load_dwordx2 v[8:9], v10, s[0:1]
	global_load_dwordx2 v[6:7], v10, s[0:1] offset:2048
	global_load_dwordx2 v[4:5], v[12:13], off
	global_load_dwordx2 v[2:3], v[12:13], off offset:2048
	s_cmp_eq_u32 s7, 0
	s_cbranch_scc1 .LBB86_5
; %bb.1:
	s_movk_i32 s0, 0xff
	v_cmp_ne_u32_e32 vcc, s0, v0
	v_or_b32_e32 v11, 0x800, v10
	s_branch .LBB86_3
.LBB86_2:                               ;   in Loop: Header=BB86_3 Depth=1
	s_or_b64 exec, exec, s[0:1]
	v_add_f64 v[12:13], v[8:9], -v[6:7]
	v_add_f64 v[14:15], v[6:7], -v[4:5]
	;; [unrolled: 1-line block ×3, first 2 shown]
	s_add_i32 s7, s7, -1
	v_add_f64 v[8:9], v[8:9], v[12:13]
	v_add_f64 v[6:7], v[6:7], v[14:15]
	;; [unrolled: 1-line block ×4, first 2 shown]
	s_cmp_lg_u32 s7, 0
	s_barrier
	s_cbranch_scc0 .LBB86_5
.LBB86_3:                               ; =>This Inner Loop Header: Depth=1
	s_waitcnt vmcnt(0)
	v_pk_mov_b32 v[0:1], v[2:3], v[2:3] op_sel:[0,1]
	ds_write_b64 v10, v[8:9] offset:2048
	s_waitcnt lgkmcnt(0)
	s_barrier
	s_and_saveexec_b64 s[0:1], vcc
	s_cbranch_execz .LBB86_2
; %bb.4:                                ;   in Loop: Header=BB86_3 Depth=1
	ds_read_b64 v[0:1], v11 offset:8
	s_waitcnt lgkmcnt(0)
	v_add_f64 v[0:1], v[2:3], -v[0:1]
	s_branch .LBB86_2
.LBB86_5:
	s_add_u32 s0, s2, s4
	s_addc_u32 s1, s3, s5
	v_mov_b32_e32 v0, s1
	v_add_co_u32_e32 v1, vcc, s0, v10
	v_addc_co_u32_e32 v11, vcc, 0, v0, vcc
	v_add_co_u32_e32 v0, vcc, 0x1000, v1
	v_addc_co_u32_e32 v1, vcc, 0, v11, vcc
	s_waitcnt vmcnt(3)
	global_store_dwordx2 v10, v[8:9], s[0:1]
	s_waitcnt vmcnt(3)
	global_store_dwordx2 v10, v[6:7], s[0:1] offset:2048
	s_waitcnt vmcnt(3)
	global_store_dwordx2 v[0:1], v[4:5], off
	s_waitcnt vmcnt(3)
	global_store_dwordx2 v[0:1], v[2:3], off offset:2048
	s_endpgm
	.section	.rodata,"a",@progbits
	.p2align	6, 0x0
	.amdhsa_kernel _Z6kernelI14subtract_rightLj256ELj4ELb0EJPdS1_jEEvDpT3_
		.amdhsa_group_segment_fixed_size 4096
		.amdhsa_private_segment_fixed_size 0
		.amdhsa_kernarg_size 20
		.amdhsa_user_sgpr_count 6
		.amdhsa_user_sgpr_private_segment_buffer 1
		.amdhsa_user_sgpr_dispatch_ptr 0
		.amdhsa_user_sgpr_queue_ptr 0
		.amdhsa_user_sgpr_kernarg_segment_ptr 1
		.amdhsa_user_sgpr_dispatch_id 0
		.amdhsa_user_sgpr_flat_scratch_init 0
		.amdhsa_user_sgpr_kernarg_preload_length 0
		.amdhsa_user_sgpr_kernarg_preload_offset 0
		.amdhsa_user_sgpr_private_segment_size 0
		.amdhsa_uses_dynamic_stack 0
		.amdhsa_system_sgpr_private_segment_wavefront_offset 0
		.amdhsa_system_sgpr_workgroup_id_x 1
		.amdhsa_system_sgpr_workgroup_id_y 0
		.amdhsa_system_sgpr_workgroup_id_z 0
		.amdhsa_system_sgpr_workgroup_info 0
		.amdhsa_system_vgpr_workitem_id 0
		.amdhsa_next_free_vgpr 18
		.amdhsa_next_free_sgpr 8
		.amdhsa_accum_offset 20
		.amdhsa_reserve_vcc 1
		.amdhsa_reserve_flat_scratch 0
		.amdhsa_float_round_mode_32 0
		.amdhsa_float_round_mode_16_64 0
		.amdhsa_float_denorm_mode_32 3
		.amdhsa_float_denorm_mode_16_64 3
		.amdhsa_dx10_clamp 1
		.amdhsa_ieee_mode 1
		.amdhsa_fp16_overflow 0
		.amdhsa_tg_split 0
		.amdhsa_exception_fp_ieee_invalid_op 0
		.amdhsa_exception_fp_denorm_src 0
		.amdhsa_exception_fp_ieee_div_zero 0
		.amdhsa_exception_fp_ieee_overflow 0
		.amdhsa_exception_fp_ieee_underflow 0
		.amdhsa_exception_fp_ieee_inexact 0
		.amdhsa_exception_int_div_zero 0
	.end_amdhsa_kernel
	.section	.text._Z6kernelI14subtract_rightLj256ELj4ELb0EJPdS1_jEEvDpT3_,"axG",@progbits,_Z6kernelI14subtract_rightLj256ELj4ELb0EJPdS1_jEEvDpT3_,comdat
.Lfunc_end86:
	.size	_Z6kernelI14subtract_rightLj256ELj4ELb0EJPdS1_jEEvDpT3_, .Lfunc_end86-_Z6kernelI14subtract_rightLj256ELj4ELb0EJPdS1_jEEvDpT3_
                                        ; -- End function
	.section	.AMDGPU.csdata,"",@progbits
; Kernel info:
; codeLenInByte = 348
; NumSgprs: 12
; NumVgprs: 18
; NumAgprs: 0
; TotalNumVgprs: 18
; ScratchSize: 0
; MemoryBound: 0
; FloatMode: 240
; IeeeMode: 1
; LDSByteSize: 4096 bytes/workgroup (compile time only)
; SGPRBlocks: 1
; VGPRBlocks: 2
; NumSGPRsForWavesPerEU: 12
; NumVGPRsForWavesPerEU: 18
; AccumOffset: 20
; Occupancy: 8
; WaveLimiterHint : 1
; COMPUTE_PGM_RSRC2:SCRATCH_EN: 0
; COMPUTE_PGM_RSRC2:USER_SGPR: 6
; COMPUTE_PGM_RSRC2:TRAP_HANDLER: 0
; COMPUTE_PGM_RSRC2:TGID_X_EN: 1
; COMPUTE_PGM_RSRC2:TGID_Y_EN: 0
; COMPUTE_PGM_RSRC2:TGID_Z_EN: 0
; COMPUTE_PGM_RSRC2:TIDIG_COMP_CNT: 0
; COMPUTE_PGM_RSRC3_GFX90A:ACCUM_OFFSET: 4
; COMPUTE_PGM_RSRC3_GFX90A:TG_SPLIT: 0
	.section	.text._Z6kernelI14subtract_rightLj256ELj8ELb0EJPdS1_jEEvDpT3_,"axG",@progbits,_Z6kernelI14subtract_rightLj256ELj8ELb0EJPdS1_jEEvDpT3_,comdat
	.protected	_Z6kernelI14subtract_rightLj256ELj8ELb0EJPdS1_jEEvDpT3_ ; -- Begin function _Z6kernelI14subtract_rightLj256ELj8ELb0EJPdS1_jEEvDpT3_
	.globl	_Z6kernelI14subtract_rightLj256ELj8ELb0EJPdS1_jEEvDpT3_
	.p2align	8
	.type	_Z6kernelI14subtract_rightLj256ELj8ELb0EJPdS1_jEEvDpT3_,@function
_Z6kernelI14subtract_rightLj256ELj8ELb0EJPdS1_jEEvDpT3_: ; @_Z6kernelI14subtract_rightLj256ELj8ELb0EJPdS1_jEEvDpT3_
; %bb.0:
	s_load_dwordx4 s[0:3], s[4:5], 0x0
	s_load_dword s7, s[4:5], 0x10
	s_lshl_b32 s4, s6, 11
	s_mov_b32 s5, 0
	s_lshl_b64 s[4:5], s[4:5], 3
	s_waitcnt lgkmcnt(0)
	s_add_u32 s0, s0, s4
	s_addc_u32 s1, s1, s5
	v_lshlrev_b32_e32 v18, 3, v0
	v_mov_b32_e32 v1, s1
	v_add_co_u32_e32 v12, vcc, s0, v18
	v_addc_co_u32_e32 v1, vcc, 0, v1, vcc
	s_movk_i32 s6, 0x1000
	v_add_co_u32_e32 v10, vcc, s6, v12
	v_addc_co_u32_e32 v11, vcc, 0, v1, vcc
	v_add_co_u32_e32 v20, vcc, 0x2000, v12
	v_addc_co_u32_e32 v21, vcc, 0, v1, vcc
	v_add_co_u32_e32 v22, vcc, 0x3000, v12
	global_load_dwordx2 v[8:9], v18, s[0:1]
	global_load_dwordx2 v[6:7], v18, s[0:1] offset:2048
	global_load_dwordx2 v[4:5], v[10:11], off
	global_load_dwordx2 v[2:3], v[10:11], off offset:2048
	v_addc_co_u32_e32 v23, vcc, 0, v1, vcc
	global_load_dwordx2 v[16:17], v[20:21], off
	global_load_dwordx2 v[14:15], v[20:21], off offset:2048
	global_load_dwordx2 v[12:13], v[22:23], off
	global_load_dwordx2 v[10:11], v[22:23], off offset:2048
	s_cmp_eq_u32 s7, 0
	s_cbranch_scc1 .LBB87_5
; %bb.1:
	s_movk_i32 s0, 0xff
	v_cmp_ne_u32_e32 vcc, s0, v0
	v_or_b32_e32 v19, 0x800, v18
	s_branch .LBB87_3
.LBB87_2:                               ;   in Loop: Header=BB87_3 Depth=1
	s_or_b64 exec, exec, s[0:1]
	v_add_f64 v[20:21], v[8:9], -v[6:7]
	v_add_f64 v[22:23], v[6:7], -v[4:5]
	;; [unrolled: 1-line block ×7, first 2 shown]
	s_add_i32 s7, s7, -1
	v_add_f64 v[8:9], v[8:9], v[20:21]
	v_add_f64 v[6:7], v[6:7], v[22:23]
	;; [unrolled: 1-line block ×8, first 2 shown]
	s_cmp_lg_u32 s7, 0
	s_barrier
	s_cbranch_scc0 .LBB87_5
.LBB87_3:                               ; =>This Inner Loop Header: Depth=1
	s_waitcnt vmcnt(0)
	v_pk_mov_b32 v[0:1], v[10:11], v[10:11] op_sel:[0,1]
	ds_write_b64 v18, v[8:9] offset:2048
	s_waitcnt lgkmcnt(0)
	s_barrier
	s_and_saveexec_b64 s[0:1], vcc
	s_cbranch_execz .LBB87_2
; %bb.4:                                ;   in Loop: Header=BB87_3 Depth=1
	ds_read_b64 v[0:1], v19 offset:8
	s_waitcnt lgkmcnt(0)
	v_add_f64 v[0:1], v[10:11], -v[0:1]
	s_branch .LBB87_2
.LBB87_5:
	s_add_u32 s0, s2, s4
	s_addc_u32 s1, s3, s5
	v_mov_b32_e32 v0, s1
	v_add_co_u32_e32 v19, vcc, s0, v18
	v_addc_co_u32_e32 v20, vcc, 0, v0, vcc
	v_add_co_u32_e32 v0, vcc, 0x1000, v19
	v_addc_co_u32_e32 v1, vcc, 0, v20, vcc
	s_waitcnt vmcnt(7)
	global_store_dwordx2 v18, v[8:9], s[0:1]
	s_waitcnt vmcnt(7)
	global_store_dwordx2 v18, v[6:7], s[0:1] offset:2048
	s_waitcnt vmcnt(7)
	global_store_dwordx2 v[0:1], v[4:5], off
	s_waitcnt vmcnt(7)
	global_store_dwordx2 v[0:1], v[2:3], off offset:2048
	v_add_co_u32_e32 v0, vcc, 0x2000, v19
	v_addc_co_u32_e32 v1, vcc, 0, v20, vcc
	s_waitcnt vmcnt(7)
	global_store_dwordx2 v[0:1], v[16:17], off
	s_waitcnt vmcnt(7)
	global_store_dwordx2 v[0:1], v[14:15], off offset:2048
	v_add_co_u32_e32 v0, vcc, 0x3000, v19
	v_addc_co_u32_e32 v1, vcc, 0, v20, vcc
	s_waitcnt vmcnt(7)
	global_store_dwordx2 v[0:1], v[12:13], off
	s_waitcnt vmcnt(7)
	global_store_dwordx2 v[0:1], v[10:11], off offset:2048
	s_endpgm
	.section	.rodata,"a",@progbits
	.p2align	6, 0x0
	.amdhsa_kernel _Z6kernelI14subtract_rightLj256ELj8ELb0EJPdS1_jEEvDpT3_
		.amdhsa_group_segment_fixed_size 4096
		.amdhsa_private_segment_fixed_size 0
		.amdhsa_kernarg_size 20
		.amdhsa_user_sgpr_count 6
		.amdhsa_user_sgpr_private_segment_buffer 1
		.amdhsa_user_sgpr_dispatch_ptr 0
		.amdhsa_user_sgpr_queue_ptr 0
		.amdhsa_user_sgpr_kernarg_segment_ptr 1
		.amdhsa_user_sgpr_dispatch_id 0
		.amdhsa_user_sgpr_flat_scratch_init 0
		.amdhsa_user_sgpr_kernarg_preload_length 0
		.amdhsa_user_sgpr_kernarg_preload_offset 0
		.amdhsa_user_sgpr_private_segment_size 0
		.amdhsa_uses_dynamic_stack 0
		.amdhsa_system_sgpr_private_segment_wavefront_offset 0
		.amdhsa_system_sgpr_workgroup_id_x 1
		.amdhsa_system_sgpr_workgroup_id_y 0
		.amdhsa_system_sgpr_workgroup_id_z 0
		.amdhsa_system_sgpr_workgroup_info 0
		.amdhsa_system_vgpr_workitem_id 0
		.amdhsa_next_free_vgpr 34
		.amdhsa_next_free_sgpr 8
		.amdhsa_accum_offset 36
		.amdhsa_reserve_vcc 1
		.amdhsa_reserve_flat_scratch 0
		.amdhsa_float_round_mode_32 0
		.amdhsa_float_round_mode_16_64 0
		.amdhsa_float_denorm_mode_32 3
		.amdhsa_float_denorm_mode_16_64 3
		.amdhsa_dx10_clamp 1
		.amdhsa_ieee_mode 1
		.amdhsa_fp16_overflow 0
		.amdhsa_tg_split 0
		.amdhsa_exception_fp_ieee_invalid_op 0
		.amdhsa_exception_fp_denorm_src 0
		.amdhsa_exception_fp_ieee_div_zero 0
		.amdhsa_exception_fp_ieee_overflow 0
		.amdhsa_exception_fp_ieee_underflow 0
		.amdhsa_exception_fp_ieee_inexact 0
		.amdhsa_exception_int_div_zero 0
	.end_amdhsa_kernel
	.section	.text._Z6kernelI14subtract_rightLj256ELj8ELb0EJPdS1_jEEvDpT3_,"axG",@progbits,_Z6kernelI14subtract_rightLj256ELj8ELb0EJPdS1_jEEvDpT3_,comdat
.Lfunc_end87:
	.size	_Z6kernelI14subtract_rightLj256ELj8ELb0EJPdS1_jEEvDpT3_, .Lfunc_end87-_Z6kernelI14subtract_rightLj256ELj8ELb0EJPdS1_jEEvDpT3_
                                        ; -- End function
	.section	.AMDGPU.csdata,"",@progbits
; Kernel info:
; codeLenInByte = 540
; NumSgprs: 12
; NumVgprs: 34
; NumAgprs: 0
; TotalNumVgprs: 34
; ScratchSize: 0
; MemoryBound: 0
; FloatMode: 240
; IeeeMode: 1
; LDSByteSize: 4096 bytes/workgroup (compile time only)
; SGPRBlocks: 1
; VGPRBlocks: 4
; NumSGPRsForWavesPerEU: 12
; NumVGPRsForWavesPerEU: 34
; AccumOffset: 36
; Occupancy: 8
; WaveLimiterHint : 1
; COMPUTE_PGM_RSRC2:SCRATCH_EN: 0
; COMPUTE_PGM_RSRC2:USER_SGPR: 6
; COMPUTE_PGM_RSRC2:TRAP_HANDLER: 0
; COMPUTE_PGM_RSRC2:TGID_X_EN: 1
; COMPUTE_PGM_RSRC2:TGID_Y_EN: 0
; COMPUTE_PGM_RSRC2:TGID_Z_EN: 0
; COMPUTE_PGM_RSRC2:TIDIG_COMP_CNT: 0
; COMPUTE_PGM_RSRC3_GFX90A:ACCUM_OFFSET: 8
; COMPUTE_PGM_RSRC3_GFX90A:TG_SPLIT: 0
	.section	.text._Z6kernelI14subtract_rightLj256ELj16ELb0EJPdS1_jEEvDpT3_,"axG",@progbits,_Z6kernelI14subtract_rightLj256ELj16ELb0EJPdS1_jEEvDpT3_,comdat
	.protected	_Z6kernelI14subtract_rightLj256ELj16ELb0EJPdS1_jEEvDpT3_ ; -- Begin function _Z6kernelI14subtract_rightLj256ELj16ELb0EJPdS1_jEEvDpT3_
	.globl	_Z6kernelI14subtract_rightLj256ELj16ELb0EJPdS1_jEEvDpT3_
	.p2align	8
	.type	_Z6kernelI14subtract_rightLj256ELj16ELb0EJPdS1_jEEvDpT3_,@function
_Z6kernelI14subtract_rightLj256ELj16ELb0EJPdS1_jEEvDpT3_: ; @_Z6kernelI14subtract_rightLj256ELj16ELb0EJPdS1_jEEvDpT3_
; %bb.0:
	s_load_dwordx4 s[0:3], s[4:5], 0x0
	s_load_dword s7, s[4:5], 0x10
	s_lshl_b32 s4, s6, 12
	s_mov_b32 s5, 0
	s_lshl_b64 s[4:5], s[4:5], 3
	s_waitcnt lgkmcnt(0)
	s_add_u32 s0, s0, s4
	s_addc_u32 s1, s1, s5
	v_lshlrev_b32_e32 v34, 3, v0
	v_mov_b32_e32 v1, s1
	v_add_co_u32_e32 v32, vcc, s0, v34
	v_addc_co_u32_e32 v1, vcc, 0, v1, vcc
	s_movk_i32 s6, 0x1000
	v_add_co_u32_e32 v12, vcc, s6, v32
	v_addc_co_u32_e32 v13, vcc, 0, v1, vcc
	s_movk_i32 s6, 0x2000
	;; [unrolled: 3-line block ×4, first 2 shown]
	v_add_co_u32_e32 v16, vcc, s6, v32
	global_load_dwordx2 v[2:3], v[36:37], off
	v_addc_co_u32_e32 v17, vcc, 0, v1, vcc
	global_load_dwordx2 v[30:31], v34, s[0:1]
	global_load_dwordx2 v[28:29], v34, s[0:1] offset:2048
	global_load_dwordx2 v[26:27], v[12:13], off offset:2048
	global_load_dwordx2 v[8:9], v[14:15], off offset:2048
	;; [unrolled: 1-line block ×3, first 2 shown]
	global_load_dwordx2 v[10:11], v[16:17], off offset:-4096
	global_load_dwordx2 v[6:7], v[16:17], off
	global_load_dwordx2 v[4:5], v[16:17], off offset:2048
	s_movk_i32 s0, 0x5000
	v_add_co_u32_e32 v16, vcc, s0, v32
	v_addc_co_u32_e32 v17, vcc, 0, v1, vcc
	v_add_co_u32_e32 v18, vcc, 0x6000, v32
	v_addc_co_u32_e32 v19, vcc, 0, v1, vcc
	v_add_co_u32_e32 v38, vcc, 0x7000, v32
	global_load_dwordx2 v[22:23], v[16:17], off
	global_load_dwordx2 v[20:21], v[16:17], off offset:2048
	global_load_dwordx2 v[14:15], v[18:19], off
	global_load_dwordx2 v[12:13], v[18:19], off offset:2048
	v_addc_co_u32_e32 v39, vcc, 0, v1, vcc
	global_load_dwordx2 v[16:17], v[38:39], off
	global_load_dwordx2 v[32:33], v[36:37], off offset:-4096
	global_load_dwordx2 v[18:19], v[38:39], off offset:2048
	s_cmp_eq_u32 s7, 0
	s_cbranch_scc1 .LBB88_5
; %bb.1:
	s_movk_i32 s0, 0xff
	v_cmp_ne_u32_e32 vcc, s0, v0
	v_or_b32_e32 v35, 0x800, v34
	s_branch .LBB88_3
.LBB88_2:                               ;   in Loop: Header=BB88_3 Depth=1
	s_or_b64 exec, exec, s[0:1]
	v_add_f64 v[36:37], v[30:31], -v[28:29]
	v_add_f64 v[38:39], v[28:29], -v[32:33]
	;; [unrolled: 1-line block ×13, first 2 shown]
	v_add_f64 v[30:31], v[30:31], v[36:37]
	v_add_f64 v[36:37], v[12:13], -v[16:17]
	v_add_f64 v[28:29], v[28:29], v[38:39]
	v_add_f64 v[38:39], v[16:17], -v[18:19]
	s_add_i32 s7, s7, -1
	v_add_f64 v[32:33], v[32:33], v[40:41]
	v_add_f64 v[26:27], v[26:27], v[42:43]
	;; [unrolled: 1-line block ×14, first 2 shown]
	s_cmp_lg_u32 s7, 0
	s_barrier
	s_cbranch_scc0 .LBB88_5
.LBB88_3:                               ; =>This Inner Loop Header: Depth=1
	s_waitcnt vmcnt(0)
	v_pk_mov_b32 v[0:1], v[18:19], v[18:19] op_sel:[0,1]
	ds_write_b64 v34, v[30:31] offset:2048
	s_waitcnt lgkmcnt(0)
	s_barrier
	s_and_saveexec_b64 s[0:1], vcc
	s_cbranch_execz .LBB88_2
; %bb.4:                                ;   in Loop: Header=BB88_3 Depth=1
	ds_read_b64 v[0:1], v35 offset:8
	s_waitcnt lgkmcnt(0)
	v_add_f64 v[0:1], v[18:19], -v[0:1]
	s_branch .LBB88_2
.LBB88_5:
	s_add_u32 s0, s2, s4
	s_addc_u32 s1, s3, s5
	v_mov_b32_e32 v0, s1
	v_add_co_u32_e32 v35, vcc, s0, v34
	v_addc_co_u32_e32 v36, vcc, 0, v0, vcc
	v_add_co_u32_e32 v0, vcc, 0x1000, v35
	v_addc_co_u32_e32 v1, vcc, 0, v36, vcc
	s_waitcnt vmcnt(14)
	global_store_dwordx2 v34, v[30:31], s[0:1]
	s_waitcnt vmcnt(14)
	global_store_dwordx2 v34, v[28:29], s[0:1] offset:2048
	s_waitcnt vmcnt(3)
	global_store_dwordx2 v[0:1], v[32:33], off
	global_store_dwordx2 v[0:1], v[26:27], off offset:2048
	v_add_co_u32_e32 v0, vcc, 0x2000, v35
	v_addc_co_u32_e32 v1, vcc, 0, v36, vcc
	global_store_dwordx2 v[0:1], v[2:3], off
	global_store_dwordx2 v[0:1], v[24:25], off offset:2048
	v_add_co_u32_e32 v0, vcc, 0x3000, v35
	v_addc_co_u32_e32 v1, vcc, 0, v36, vcc
	;; [unrolled: 4-line block ×6, first 2 shown]
	global_store_dwordx2 v[0:1], v[16:17], off
	s_waitcnt vmcnt(15)
	global_store_dwordx2 v[0:1], v[18:19], off offset:2048
	s_endpgm
	.section	.rodata,"a",@progbits
	.p2align	6, 0x0
	.amdhsa_kernel _Z6kernelI14subtract_rightLj256ELj16ELb0EJPdS1_jEEvDpT3_
		.amdhsa_group_segment_fixed_size 4096
		.amdhsa_private_segment_fixed_size 0
		.amdhsa_kernarg_size 20
		.amdhsa_user_sgpr_count 6
		.amdhsa_user_sgpr_private_segment_buffer 1
		.amdhsa_user_sgpr_dispatch_ptr 0
		.amdhsa_user_sgpr_queue_ptr 0
		.amdhsa_user_sgpr_kernarg_segment_ptr 1
		.amdhsa_user_sgpr_dispatch_id 0
		.amdhsa_user_sgpr_flat_scratch_init 0
		.amdhsa_user_sgpr_kernarg_preload_length 0
		.amdhsa_user_sgpr_kernarg_preload_offset 0
		.amdhsa_user_sgpr_private_segment_size 0
		.amdhsa_uses_dynamic_stack 0
		.amdhsa_system_sgpr_private_segment_wavefront_offset 0
		.amdhsa_system_sgpr_workgroup_id_x 1
		.amdhsa_system_sgpr_workgroup_id_y 0
		.amdhsa_system_sgpr_workgroup_id_z 0
		.amdhsa_system_sgpr_workgroup_info 0
		.amdhsa_system_vgpr_workitem_id 0
		.amdhsa_next_free_vgpr 62
		.amdhsa_next_free_sgpr 8
		.amdhsa_accum_offset 64
		.amdhsa_reserve_vcc 1
		.amdhsa_reserve_flat_scratch 0
		.amdhsa_float_round_mode_32 0
		.amdhsa_float_round_mode_16_64 0
		.amdhsa_float_denorm_mode_32 3
		.amdhsa_float_denorm_mode_16_64 3
		.amdhsa_dx10_clamp 1
		.amdhsa_ieee_mode 1
		.amdhsa_fp16_overflow 0
		.amdhsa_tg_split 0
		.amdhsa_exception_fp_ieee_invalid_op 0
		.amdhsa_exception_fp_denorm_src 0
		.amdhsa_exception_fp_ieee_div_zero 0
		.amdhsa_exception_fp_ieee_overflow 0
		.amdhsa_exception_fp_ieee_underflow 0
		.amdhsa_exception_fp_ieee_inexact 0
		.amdhsa_exception_int_div_zero 0
	.end_amdhsa_kernel
	.section	.text._Z6kernelI14subtract_rightLj256ELj16ELb0EJPdS1_jEEvDpT3_,"axG",@progbits,_Z6kernelI14subtract_rightLj256ELj16ELb0EJPdS1_jEEvDpT3_,comdat
.Lfunc_end88:
	.size	_Z6kernelI14subtract_rightLj256ELj16ELb0EJPdS1_jEEvDpT3_, .Lfunc_end88-_Z6kernelI14subtract_rightLj256ELj16ELb0EJPdS1_jEEvDpT3_
                                        ; -- End function
	.section	.AMDGPU.csdata,"",@progbits
; Kernel info:
; codeLenInByte = 876
; NumSgprs: 12
; NumVgprs: 62
; NumAgprs: 0
; TotalNumVgprs: 62
; ScratchSize: 0
; MemoryBound: 0
; FloatMode: 240
; IeeeMode: 1
; LDSByteSize: 4096 bytes/workgroup (compile time only)
; SGPRBlocks: 1
; VGPRBlocks: 7
; NumSGPRsForWavesPerEU: 12
; NumVGPRsForWavesPerEU: 62
; AccumOffset: 64
; Occupancy: 8
; WaveLimiterHint : 1
; COMPUTE_PGM_RSRC2:SCRATCH_EN: 0
; COMPUTE_PGM_RSRC2:USER_SGPR: 6
; COMPUTE_PGM_RSRC2:TRAP_HANDLER: 0
; COMPUTE_PGM_RSRC2:TGID_X_EN: 1
; COMPUTE_PGM_RSRC2:TGID_Y_EN: 0
; COMPUTE_PGM_RSRC2:TGID_Z_EN: 0
; COMPUTE_PGM_RSRC2:TIDIG_COMP_CNT: 0
; COMPUTE_PGM_RSRC3_GFX90A:ACCUM_OFFSET: 15
; COMPUTE_PGM_RSRC3_GFX90A:TG_SPLIT: 0
	.section	.text._Z6kernelI14subtract_rightLj256ELj32ELb0EJPdS1_jEEvDpT3_,"axG",@progbits,_Z6kernelI14subtract_rightLj256ELj32ELb0EJPdS1_jEEvDpT3_,comdat
	.protected	_Z6kernelI14subtract_rightLj256ELj32ELb0EJPdS1_jEEvDpT3_ ; -- Begin function _Z6kernelI14subtract_rightLj256ELj32ELb0EJPdS1_jEEvDpT3_
	.globl	_Z6kernelI14subtract_rightLj256ELj32ELb0EJPdS1_jEEvDpT3_
	.p2align	8
	.type	_Z6kernelI14subtract_rightLj256ELj32ELb0EJPdS1_jEEvDpT3_,@function
_Z6kernelI14subtract_rightLj256ELj32ELb0EJPdS1_jEEvDpT3_: ; @_Z6kernelI14subtract_rightLj256ELj32ELb0EJPdS1_jEEvDpT3_
; %bb.0:
	s_load_dwordx4 s[0:3], s[4:5], 0x0
	s_load_dword s7, s[4:5], 0x10
	s_lshl_b32 s4, s6, 13
	s_mov_b32 s5, 0
	s_lshl_b64 s[4:5], s[4:5], 3
	s_waitcnt lgkmcnt(0)
	s_add_u32 s0, s0, s4
	s_addc_u32 s1, s1, s5
	v_lshlrev_b32_e32 v66, 3, v0
	v_mov_b32_e32 v1, s1
	v_add_co_u32_e32 v52, vcc, s0, v66
	v_addc_co_u32_e32 v1, vcc, 0, v1, vcc
	s_movk_i32 s6, 0x1000
	v_add_co_u32_e32 v68, vcc, s6, v52
	v_addc_co_u32_e32 v69, vcc, 0, v1, vcc
	s_movk_i32 s6, 0x2000
	;; [unrolled: 3-line block ×6, first 2 shown]
	global_load_dwordx2 v[6:7], v[8:9], off offset:2048
	global_load_dwordx2 v[4:5], v[72:73], off
	global_load_dwordx2 v[2:3], v[72:73], off offset:2048
	v_add_co_u32_e32 v8, vcc, s6, v52
	v_addc_co_u32_e32 v9, vcc, 0, v1, vcc
	s_movk_i32 s6, 0x7000
	v_add_co_u32_e32 v38, vcc, s6, v52
	v_addc_co_u32_e32 v39, vcc, 0, v1, vcc
	s_mov_b32 s6, 0x8000
	v_add_co_u32_e32 v18, vcc, s6, v52
	v_addc_co_u32_e32 v19, vcc, 0, v1, vcc
	s_mov_b32 s6, 0x9000
	;; [unrolled: 3-line block ×6, first 2 shown]
	v_add_co_u32_e32 v74, vcc, s6, v52
	v_addc_co_u32_e32 v75, vcc, 0, v1, vcc
	v_add_co_u32_e32 v76, vcc, 0xe000, v52
	v_addc_co_u32_e32 v77, vcc, 0, v1, vcc
	v_add_co_u32_e32 v78, vcc, 0xf000, v52
	global_load_dwordx2 v[28:29], v[8:9], off offset:-4096
	global_load_dwordx2 v[16:17], v[8:9], off
	global_load_dwordx2 v[14:15], v[8:9], off offset:2048
	global_load_dwordx2 v[10:11], v[18:19], off offset:-4096
	global_load_dwordx2 v[24:25], v[18:19], off
	global_load_dwordx2 v[22:23], v[18:19], off offset:2048
	global_load_dwordx2 v[12:13], v[42:43], off offset:-4096
	s_nop 0
	global_load_dwordx2 v[8:9], v[42:43], off
	global_load_dwordx2 v[50:51], v[36:37], off offset:2048
	global_load_dwordx2 v[48:49], v[38:39], off offset:2048
	;; [unrolled: 1-line block ×5, first 2 shown]
	global_load_dwordx2 v[30:31], v[46:47], off offset:-4096
	global_load_dwordx2 v[20:21], v[46:47], off
	global_load_dwordx2 v[18:19], v[46:47], off offset:2048
	v_addc_co_u32_e32 v79, vcc, 0, v1, vcc
	global_load_dwordx2 v[46:47], v[74:75], off
	global_load_dwordx2 v[44:45], v[74:75], off offset:2048
	global_load_dwordx2 v[38:39], v[76:77], off
	global_load_dwordx2 v[36:37], v[76:77], off offset:2048
	global_load_dwordx2 v[52:53], v[72:73], off offset:-4096
	global_load_dwordx2 v[54:55], v[70:71], off offset:2048
	global_load_dwordx2 v[40:41], v[78:79], off
	global_load_dwordx2 v[56:57], v[70:71], off
	global_load_dwordx2 v[58:59], v[70:71], off offset:-4096
	global_load_dwordx2 v[42:43], v[78:79], off offset:2048
	global_load_dwordx2 v[62:63], v66, s[0:1]
	global_load_dwordx2 v[60:61], v[68:69], off offset:2048
	global_load_dwordx2 v[64:65], v66, s[0:1] offset:2048
	s_cmp_eq_u32 s7, 0
	s_cbranch_scc1 .LBB89_5
; %bb.1:
	s_movk_i32 s0, 0xff
	v_cmp_ne_u32_e32 vcc, s0, v0
	v_or_b32_e32 v67, 0x800, v66
	s_branch .LBB89_3
.LBB89_2:                               ;   in Loop: Header=BB89_3 Depth=1
	s_or_b64 exec, exec, s[0:1]
	s_waitcnt vmcnt(0)
	v_add_f64 v[68:69], v[62:63], -v[64:65]
	v_add_f64 v[62:63], v[62:63], v[68:69]
	v_add_f64 v[68:69], v[64:65], -v[58:59]
	v_add_f64 v[64:65], v[64:65], v[68:69]
	;; [unrolled: 2-line block ×30, first 2 shown]
	v_add_f64 v[68:69], v[40:41], -v[42:43]
	s_add_i32 s7, s7, -1
	v_add_f64 v[40:41], v[40:41], v[68:69]
	v_add_f64 v[42:43], v[42:43], v[0:1]
	s_cmp_lg_u32 s7, 0
	s_barrier
	s_cbranch_scc0 .LBB89_5
.LBB89_3:                               ; =>This Inner Loop Header: Depth=1
	s_waitcnt vmcnt(3)
	v_pk_mov_b32 v[0:1], v[42:43], v[42:43] op_sel:[0,1]
	s_waitcnt vmcnt(2)
	ds_write_b64 v66, v[62:63] offset:2048
	s_waitcnt lgkmcnt(0)
	s_barrier
	s_and_saveexec_b64 s[0:1], vcc
	s_cbranch_execz .LBB89_2
; %bb.4:                                ;   in Loop: Header=BB89_3 Depth=1
	ds_read_b64 v[0:1], v67 offset:8
	s_waitcnt lgkmcnt(0)
	v_add_f64 v[0:1], v[42:43], -v[0:1]
	s_branch .LBB89_2
.LBB89_5:
	s_add_u32 s0, s2, s4
	s_addc_u32 s1, s3, s5
	v_mov_b32_e32 v0, s1
	v_add_co_u32_e32 v67, vcc, s0, v66
	v_addc_co_u32_e32 v68, vcc, 0, v0, vcc
	v_add_co_u32_e32 v0, vcc, 0x1000, v67
	v_addc_co_u32_e32 v1, vcc, 0, v68, vcc
	s_waitcnt vmcnt(2)
	global_store_dwordx2 v66, v[62:63], s[0:1]
	s_waitcnt vmcnt(1)
	global_store_dwordx2 v66, v[64:65], s[0:1] offset:2048
	global_store_dwordx2 v[0:1], v[58:59], off
	global_store_dwordx2 v[0:1], v[60:61], off offset:2048
	v_add_co_u32_e32 v0, vcc, 0x2000, v67
	v_addc_co_u32_e32 v1, vcc, 0, v68, vcc
	global_store_dwordx2 v[0:1], v[56:57], off
	global_store_dwordx2 v[0:1], v[54:55], off offset:2048
	v_add_co_u32_e32 v0, vcc, 0x3000, v67
	v_addc_co_u32_e32 v1, vcc, 0, v68, vcc
	;; [unrolled: 4-line block ×14, first 2 shown]
	global_store_dwordx2 v[0:1], v[40:41], off
	global_store_dwordx2 v[0:1], v[42:43], off offset:2048
	s_endpgm
	.section	.rodata,"a",@progbits
	.p2align	6, 0x0
	.amdhsa_kernel _Z6kernelI14subtract_rightLj256ELj32ELb0EJPdS1_jEEvDpT3_
		.amdhsa_group_segment_fixed_size 4096
		.amdhsa_private_segment_fixed_size 0
		.amdhsa_kernarg_size 20
		.amdhsa_user_sgpr_count 6
		.amdhsa_user_sgpr_private_segment_buffer 1
		.amdhsa_user_sgpr_dispatch_ptr 0
		.amdhsa_user_sgpr_queue_ptr 0
		.amdhsa_user_sgpr_kernarg_segment_ptr 1
		.amdhsa_user_sgpr_dispatch_id 0
		.amdhsa_user_sgpr_flat_scratch_init 0
		.amdhsa_user_sgpr_kernarg_preload_length 0
		.amdhsa_user_sgpr_kernarg_preload_offset 0
		.amdhsa_user_sgpr_private_segment_size 0
		.amdhsa_uses_dynamic_stack 0
		.amdhsa_system_sgpr_private_segment_wavefront_offset 0
		.amdhsa_system_sgpr_workgroup_id_x 1
		.amdhsa_system_sgpr_workgroup_id_y 0
		.amdhsa_system_sgpr_workgroup_id_z 0
		.amdhsa_system_sgpr_workgroup_info 0
		.amdhsa_system_vgpr_workitem_id 0
		.amdhsa_next_free_vgpr 80
		.amdhsa_next_free_sgpr 8
		.amdhsa_accum_offset 80
		.amdhsa_reserve_vcc 1
		.amdhsa_reserve_flat_scratch 0
		.amdhsa_float_round_mode_32 0
		.amdhsa_float_round_mode_16_64 0
		.amdhsa_float_denorm_mode_32 3
		.amdhsa_float_denorm_mode_16_64 3
		.amdhsa_dx10_clamp 1
		.amdhsa_ieee_mode 1
		.amdhsa_fp16_overflow 0
		.amdhsa_tg_split 0
		.amdhsa_exception_fp_ieee_invalid_op 0
		.amdhsa_exception_fp_denorm_src 0
		.amdhsa_exception_fp_ieee_div_zero 0
		.amdhsa_exception_fp_ieee_overflow 0
		.amdhsa_exception_fp_ieee_underflow 0
		.amdhsa_exception_fp_ieee_inexact 0
		.amdhsa_exception_int_div_zero 0
	.end_amdhsa_kernel
	.section	.text._Z6kernelI14subtract_rightLj256ELj32ELb0EJPdS1_jEEvDpT3_,"axG",@progbits,_Z6kernelI14subtract_rightLj256ELj32ELb0EJPdS1_jEEvDpT3_,comdat
.Lfunc_end89:
	.size	_Z6kernelI14subtract_rightLj256ELj32ELb0EJPdS1_jEEvDpT3_, .Lfunc_end89-_Z6kernelI14subtract_rightLj256ELj32ELb0EJPdS1_jEEvDpT3_
                                        ; -- End function
	.section	.AMDGPU.csdata,"",@progbits
; Kernel info:
; codeLenInByte = 1608
; NumSgprs: 12
; NumVgprs: 80
; NumAgprs: 0
; TotalNumVgprs: 80
; ScratchSize: 0
; MemoryBound: 0
; FloatMode: 240
; IeeeMode: 1
; LDSByteSize: 4096 bytes/workgroup (compile time only)
; SGPRBlocks: 1
; VGPRBlocks: 9
; NumSGPRsForWavesPerEU: 12
; NumVGPRsForWavesPerEU: 80
; AccumOffset: 80
; Occupancy: 6
; WaveLimiterHint : 1
; COMPUTE_PGM_RSRC2:SCRATCH_EN: 0
; COMPUTE_PGM_RSRC2:USER_SGPR: 6
; COMPUTE_PGM_RSRC2:TRAP_HANDLER: 0
; COMPUTE_PGM_RSRC2:TGID_X_EN: 1
; COMPUTE_PGM_RSRC2:TGID_Y_EN: 0
; COMPUTE_PGM_RSRC2:TGID_Z_EN: 0
; COMPUTE_PGM_RSRC2:TIDIG_COMP_CNT: 0
; COMPUTE_PGM_RSRC3_GFX90A:ACCUM_OFFSET: 19
; COMPUTE_PGM_RSRC3_GFX90A:TG_SPLIT: 0
	.section	.text._Z6kernelI14subtract_rightLj256ELj1ELb1EJPiS1_jEEvDpT3_,"axG",@progbits,_Z6kernelI14subtract_rightLj256ELj1ELb1EJPiS1_jEEvDpT3_,comdat
	.protected	_Z6kernelI14subtract_rightLj256ELj1ELb1EJPiS1_jEEvDpT3_ ; -- Begin function _Z6kernelI14subtract_rightLj256ELj1ELb1EJPiS1_jEEvDpT3_
	.globl	_Z6kernelI14subtract_rightLj256ELj1ELb1EJPiS1_jEEvDpT3_
	.p2align	8
	.type	_Z6kernelI14subtract_rightLj256ELj1ELb1EJPiS1_jEEvDpT3_,@function
_Z6kernelI14subtract_rightLj256ELj1ELb1EJPiS1_jEEvDpT3_: ; @_Z6kernelI14subtract_rightLj256ELj1ELb1EJPiS1_jEEvDpT3_
; %bb.0:
	s_load_dwordx4 s[0:3], s[4:5], 0x0
	s_load_dword s7, s[4:5], 0x10
	s_lshl_b32 s4, s6, 8
	s_mov_b32 s5, 0
	s_lshl_b64 s[4:5], s[4:5], 2
	s_waitcnt lgkmcnt(0)
	s_add_u32 s0, s0, s4
	s_addc_u32 s1, s1, s5
	v_lshlrev_b32_e32 v1, 2, v0
	global_load_dword v2, v1, s[0:1]
	s_cmp_eq_u32 s7, 0
	s_cbranch_scc1 .LBB90_5
; %bb.1:
	s_movk_i32 s0, 0xff
	v_cmp_ne_u32_e32 vcc, s0, v0
	v_or_b32_e32 v0, 0x400, v1
	s_branch .LBB90_3
.LBB90_2:                               ;   in Loop: Header=BB90_3 Depth=1
	s_or_b64 exec, exec, s[0:1]
	v_lshlrev_b32_e32 v2, 1, v2
	s_add_i32 s7, s7, -1
	s_waitcnt lgkmcnt(0)
	v_sub_u32_e32 v2, v2, v3
	s_cmp_lg_u32 s7, 0
	s_barrier
	s_cbranch_scc0 .LBB90_5
.LBB90_3:                               ; =>This Inner Loop Header: Depth=1
	v_mov_b32_e32 v3, 0x7b
	s_waitcnt vmcnt(0)
	ds_write_b32 v1, v2 offset:1024
	s_waitcnt lgkmcnt(0)
	s_barrier
	s_and_saveexec_b64 s[0:1], vcc
	s_cbranch_execz .LBB90_2
; %bb.4:                                ;   in Loop: Header=BB90_3 Depth=1
	ds_read_b32 v3, v0 offset:4
	s_branch .LBB90_2
.LBB90_5:
	s_add_u32 s0, s2, s4
	s_addc_u32 s1, s3, s5
	s_waitcnt vmcnt(0)
	global_store_dword v1, v2, s[0:1]
	s_endpgm
	.section	.rodata,"a",@progbits
	.p2align	6, 0x0
	.amdhsa_kernel _Z6kernelI14subtract_rightLj256ELj1ELb1EJPiS1_jEEvDpT3_
		.amdhsa_group_segment_fixed_size 2048
		.amdhsa_private_segment_fixed_size 0
		.amdhsa_kernarg_size 20
		.amdhsa_user_sgpr_count 6
		.amdhsa_user_sgpr_private_segment_buffer 1
		.amdhsa_user_sgpr_dispatch_ptr 0
		.amdhsa_user_sgpr_queue_ptr 0
		.amdhsa_user_sgpr_kernarg_segment_ptr 1
		.amdhsa_user_sgpr_dispatch_id 0
		.amdhsa_user_sgpr_flat_scratch_init 0
		.amdhsa_user_sgpr_kernarg_preload_length 0
		.amdhsa_user_sgpr_kernarg_preload_offset 0
		.amdhsa_user_sgpr_private_segment_size 0
		.amdhsa_uses_dynamic_stack 0
		.amdhsa_system_sgpr_private_segment_wavefront_offset 0
		.amdhsa_system_sgpr_workgroup_id_x 1
		.amdhsa_system_sgpr_workgroup_id_y 0
		.amdhsa_system_sgpr_workgroup_id_z 0
		.amdhsa_system_sgpr_workgroup_info 0
		.amdhsa_system_vgpr_workitem_id 0
		.amdhsa_next_free_vgpr 4
		.amdhsa_next_free_sgpr 8
		.amdhsa_accum_offset 4
		.amdhsa_reserve_vcc 1
		.amdhsa_reserve_flat_scratch 0
		.amdhsa_float_round_mode_32 0
		.amdhsa_float_round_mode_16_64 0
		.amdhsa_float_denorm_mode_32 3
		.amdhsa_float_denorm_mode_16_64 3
		.amdhsa_dx10_clamp 1
		.amdhsa_ieee_mode 1
		.amdhsa_fp16_overflow 0
		.amdhsa_tg_split 0
		.amdhsa_exception_fp_ieee_invalid_op 0
		.amdhsa_exception_fp_denorm_src 0
		.amdhsa_exception_fp_ieee_div_zero 0
		.amdhsa_exception_fp_ieee_overflow 0
		.amdhsa_exception_fp_ieee_underflow 0
		.amdhsa_exception_fp_ieee_inexact 0
		.amdhsa_exception_int_div_zero 0
	.end_amdhsa_kernel
	.section	.text._Z6kernelI14subtract_rightLj256ELj1ELb1EJPiS1_jEEvDpT3_,"axG",@progbits,_Z6kernelI14subtract_rightLj256ELj1ELb1EJPiS1_jEEvDpT3_,comdat
.Lfunc_end90:
	.size	_Z6kernelI14subtract_rightLj256ELj1ELb1EJPiS1_jEEvDpT3_, .Lfunc_end90-_Z6kernelI14subtract_rightLj256ELj1ELb1EJPiS1_jEEvDpT3_
                                        ; -- End function
	.section	.AMDGPU.csdata,"",@progbits
; Kernel info:
; codeLenInByte = 184
; NumSgprs: 12
; NumVgprs: 4
; NumAgprs: 0
; TotalNumVgprs: 4
; ScratchSize: 0
; MemoryBound: 0
; FloatMode: 240
; IeeeMode: 1
; LDSByteSize: 2048 bytes/workgroup (compile time only)
; SGPRBlocks: 1
; VGPRBlocks: 0
; NumSGPRsForWavesPerEU: 12
; NumVGPRsForWavesPerEU: 4
; AccumOffset: 4
; Occupancy: 8
; WaveLimiterHint : 0
; COMPUTE_PGM_RSRC2:SCRATCH_EN: 0
; COMPUTE_PGM_RSRC2:USER_SGPR: 6
; COMPUTE_PGM_RSRC2:TRAP_HANDLER: 0
; COMPUTE_PGM_RSRC2:TGID_X_EN: 1
; COMPUTE_PGM_RSRC2:TGID_Y_EN: 0
; COMPUTE_PGM_RSRC2:TGID_Z_EN: 0
; COMPUTE_PGM_RSRC2:TIDIG_COMP_CNT: 0
; COMPUTE_PGM_RSRC3_GFX90A:ACCUM_OFFSET: 0
; COMPUTE_PGM_RSRC3_GFX90A:TG_SPLIT: 0
	.section	.text._Z6kernelI14subtract_rightLj256ELj3ELb1EJPiS1_jEEvDpT3_,"axG",@progbits,_Z6kernelI14subtract_rightLj256ELj3ELb1EJPiS1_jEEvDpT3_,comdat
	.protected	_Z6kernelI14subtract_rightLj256ELj3ELb1EJPiS1_jEEvDpT3_ ; -- Begin function _Z6kernelI14subtract_rightLj256ELj3ELb1EJPiS1_jEEvDpT3_
	.globl	_Z6kernelI14subtract_rightLj256ELj3ELb1EJPiS1_jEEvDpT3_
	.p2align	8
	.type	_Z6kernelI14subtract_rightLj256ELj3ELb1EJPiS1_jEEvDpT3_,@function
_Z6kernelI14subtract_rightLj256ELj3ELb1EJPiS1_jEEvDpT3_: ; @_Z6kernelI14subtract_rightLj256ELj3ELb1EJPiS1_jEEvDpT3_
; %bb.0:
	s_load_dwordx4 s[0:3], s[4:5], 0x0
	s_load_dword s7, s[4:5], 0x10
	s_mul_i32 s4, s6, 0x300
	s_mov_b32 s5, 0
	s_lshl_b64 s[4:5], s[4:5], 2
	s_waitcnt lgkmcnt(0)
	s_add_u32 s0, s0, s4
	s_addc_u32 s1, s1, s5
	v_lshlrev_b32_e32 v1, 2, v0
	global_load_dword v4, v1, s[0:1]
	global_load_dword v3, v1, s[0:1] offset:1024
	global_load_dword v2, v1, s[0:1] offset:2048
	s_cmp_eq_u32 s7, 0
	s_cbranch_scc1 .LBB91_5
; %bb.1:
	s_movk_i32 s0, 0xff
	v_cmp_ne_u32_e32 vcc, s0, v0
	v_or_b32_e32 v0, 0x400, v1
	s_branch .LBB91_3
.LBB91_2:                               ;   in Loop: Header=BB91_3 Depth=1
	s_or_b64 exec, exec, s[0:1]
	v_lshlrev_b32_e32 v4, 1, v4
	s_waitcnt vmcnt(1)
	v_sub_u32_e32 v4, v4, v3
	v_lshlrev_b32_e32 v3, 1, v3
	s_waitcnt vmcnt(0)
	v_sub_u32_e32 v3, v3, v2
	v_lshlrev_b32_e32 v2, 1, v2
	s_add_i32 s7, s7, -1
	s_waitcnt lgkmcnt(0)
	v_sub_u32_e32 v2, v2, v5
	s_cmp_lg_u32 s7, 0
	s_barrier
	s_cbranch_scc0 .LBB91_5
.LBB91_3:                               ; =>This Inner Loop Header: Depth=1
	v_mov_b32_e32 v5, 0x7b
	s_waitcnt vmcnt(2)
	ds_write_b32 v1, v4 offset:1024
	s_waitcnt lgkmcnt(0)
	s_barrier
	s_and_saveexec_b64 s[0:1], vcc
	s_cbranch_execz .LBB91_2
; %bb.4:                                ;   in Loop: Header=BB91_3 Depth=1
	ds_read_b32 v5, v0 offset:4
	s_branch .LBB91_2
.LBB91_5:
	s_add_u32 s0, s2, s4
	s_addc_u32 s1, s3, s5
	s_waitcnt vmcnt(2)
	global_store_dword v1, v4, s[0:1]
	s_waitcnt vmcnt(2)
	global_store_dword v1, v3, s[0:1] offset:1024
	s_waitcnt vmcnt(2)
	global_store_dword v1, v2, s[0:1] offset:2048
	s_endpgm
	.section	.rodata,"a",@progbits
	.p2align	6, 0x0
	.amdhsa_kernel _Z6kernelI14subtract_rightLj256ELj3ELb1EJPiS1_jEEvDpT3_
		.amdhsa_group_segment_fixed_size 2048
		.amdhsa_private_segment_fixed_size 0
		.amdhsa_kernarg_size 20
		.amdhsa_user_sgpr_count 6
		.amdhsa_user_sgpr_private_segment_buffer 1
		.amdhsa_user_sgpr_dispatch_ptr 0
		.amdhsa_user_sgpr_queue_ptr 0
		.amdhsa_user_sgpr_kernarg_segment_ptr 1
		.amdhsa_user_sgpr_dispatch_id 0
		.amdhsa_user_sgpr_flat_scratch_init 0
		.amdhsa_user_sgpr_kernarg_preload_length 0
		.amdhsa_user_sgpr_kernarg_preload_offset 0
		.amdhsa_user_sgpr_private_segment_size 0
		.amdhsa_uses_dynamic_stack 0
		.amdhsa_system_sgpr_private_segment_wavefront_offset 0
		.amdhsa_system_sgpr_workgroup_id_x 1
		.amdhsa_system_sgpr_workgroup_id_y 0
		.amdhsa_system_sgpr_workgroup_id_z 0
		.amdhsa_system_sgpr_workgroup_info 0
		.amdhsa_system_vgpr_workitem_id 0
		.amdhsa_next_free_vgpr 6
		.amdhsa_next_free_sgpr 8
		.amdhsa_accum_offset 8
		.amdhsa_reserve_vcc 1
		.amdhsa_reserve_flat_scratch 0
		.amdhsa_float_round_mode_32 0
		.amdhsa_float_round_mode_16_64 0
		.amdhsa_float_denorm_mode_32 3
		.amdhsa_float_denorm_mode_16_64 3
		.amdhsa_dx10_clamp 1
		.amdhsa_ieee_mode 1
		.amdhsa_fp16_overflow 0
		.amdhsa_tg_split 0
		.amdhsa_exception_fp_ieee_invalid_op 0
		.amdhsa_exception_fp_denorm_src 0
		.amdhsa_exception_fp_ieee_div_zero 0
		.amdhsa_exception_fp_ieee_overflow 0
		.amdhsa_exception_fp_ieee_underflow 0
		.amdhsa_exception_fp_ieee_inexact 0
		.amdhsa_exception_int_div_zero 0
	.end_amdhsa_kernel
	.section	.text._Z6kernelI14subtract_rightLj256ELj3ELb1EJPiS1_jEEvDpT3_,"axG",@progbits,_Z6kernelI14subtract_rightLj256ELj3ELb1EJPiS1_jEEvDpT3_,comdat
.Lfunc_end91:
	.size	_Z6kernelI14subtract_rightLj256ELj3ELb1EJPiS1_jEEvDpT3_, .Lfunc_end91-_Z6kernelI14subtract_rightLj256ELj3ELb1EJPiS1_jEEvDpT3_
                                        ; -- End function
	.section	.AMDGPU.csdata,"",@progbits
; Kernel info:
; codeLenInByte = 252
; NumSgprs: 12
; NumVgprs: 6
; NumAgprs: 0
; TotalNumVgprs: 6
; ScratchSize: 0
; MemoryBound: 0
; FloatMode: 240
; IeeeMode: 1
; LDSByteSize: 2048 bytes/workgroup (compile time only)
; SGPRBlocks: 1
; VGPRBlocks: 0
; NumSGPRsForWavesPerEU: 12
; NumVGPRsForWavesPerEU: 6
; AccumOffset: 8
; Occupancy: 8
; WaveLimiterHint : 1
; COMPUTE_PGM_RSRC2:SCRATCH_EN: 0
; COMPUTE_PGM_RSRC2:USER_SGPR: 6
; COMPUTE_PGM_RSRC2:TRAP_HANDLER: 0
; COMPUTE_PGM_RSRC2:TGID_X_EN: 1
; COMPUTE_PGM_RSRC2:TGID_Y_EN: 0
; COMPUTE_PGM_RSRC2:TGID_Z_EN: 0
; COMPUTE_PGM_RSRC2:TIDIG_COMP_CNT: 0
; COMPUTE_PGM_RSRC3_GFX90A:ACCUM_OFFSET: 1
; COMPUTE_PGM_RSRC3_GFX90A:TG_SPLIT: 0
	.section	.text._Z6kernelI14subtract_rightLj256ELj4ELb1EJPiS1_jEEvDpT3_,"axG",@progbits,_Z6kernelI14subtract_rightLj256ELj4ELb1EJPiS1_jEEvDpT3_,comdat
	.protected	_Z6kernelI14subtract_rightLj256ELj4ELb1EJPiS1_jEEvDpT3_ ; -- Begin function _Z6kernelI14subtract_rightLj256ELj4ELb1EJPiS1_jEEvDpT3_
	.globl	_Z6kernelI14subtract_rightLj256ELj4ELb1EJPiS1_jEEvDpT3_
	.p2align	8
	.type	_Z6kernelI14subtract_rightLj256ELj4ELb1EJPiS1_jEEvDpT3_,@function
_Z6kernelI14subtract_rightLj256ELj4ELb1EJPiS1_jEEvDpT3_: ; @_Z6kernelI14subtract_rightLj256ELj4ELb1EJPiS1_jEEvDpT3_
; %bb.0:
	s_load_dwordx4 s[0:3], s[4:5], 0x0
	s_load_dword s7, s[4:5], 0x10
	s_lshl_b32 s4, s6, 10
	s_mov_b32 s5, 0
	s_lshl_b64 s[4:5], s[4:5], 2
	s_waitcnt lgkmcnt(0)
	s_add_u32 s0, s0, s4
	s_addc_u32 s1, s1, s5
	v_lshlrev_b32_e32 v1, 2, v0
	global_load_dword v5, v1, s[0:1]
	global_load_dword v4, v1, s[0:1] offset:1024
	global_load_dword v3, v1, s[0:1] offset:2048
	;; [unrolled: 1-line block ×3, first 2 shown]
	s_cmp_eq_u32 s7, 0
	s_cbranch_scc1 .LBB92_5
; %bb.1:
	s_movk_i32 s0, 0xff
	v_cmp_ne_u32_e32 vcc, s0, v0
	v_or_b32_e32 v0, 0x400, v1
	s_branch .LBB92_3
.LBB92_2:                               ;   in Loop: Header=BB92_3 Depth=1
	s_or_b64 exec, exec, s[0:1]
	v_lshlrev_b32_e32 v5, 1, v5
	s_waitcnt vmcnt(2)
	v_sub_u32_e32 v5, v5, v4
	v_lshlrev_b32_e32 v4, 1, v4
	s_waitcnt vmcnt(1)
	v_sub_u32_e32 v4, v4, v3
	v_lshlrev_b32_e32 v3, 1, v3
	s_waitcnt vmcnt(0)
	v_sub_u32_e32 v3, v3, v2
	v_lshlrev_b32_e32 v2, 1, v2
	s_add_i32 s7, s7, -1
	s_waitcnt lgkmcnt(0)
	v_sub_u32_e32 v2, v2, v6
	s_cmp_lg_u32 s7, 0
	s_barrier
	s_cbranch_scc0 .LBB92_5
.LBB92_3:                               ; =>This Inner Loop Header: Depth=1
	v_mov_b32_e32 v6, 0x7b
	s_waitcnt vmcnt(3)
	ds_write_b32 v1, v5 offset:1024
	s_waitcnt lgkmcnt(0)
	s_barrier
	s_and_saveexec_b64 s[0:1], vcc
	s_cbranch_execz .LBB92_2
; %bb.4:                                ;   in Loop: Header=BB92_3 Depth=1
	ds_read_b32 v6, v0 offset:4
	s_branch .LBB92_2
.LBB92_5:
	s_add_u32 s0, s2, s4
	s_addc_u32 s1, s3, s5
	s_waitcnt vmcnt(3)
	global_store_dword v1, v5, s[0:1]
	s_waitcnt vmcnt(3)
	global_store_dword v1, v4, s[0:1] offset:1024
	s_waitcnt vmcnt(3)
	global_store_dword v1, v3, s[0:1] offset:2048
	;; [unrolled: 2-line block ×3, first 2 shown]
	s_endpgm
	.section	.rodata,"a",@progbits
	.p2align	6, 0x0
	.amdhsa_kernel _Z6kernelI14subtract_rightLj256ELj4ELb1EJPiS1_jEEvDpT3_
		.amdhsa_group_segment_fixed_size 2048
		.amdhsa_private_segment_fixed_size 0
		.amdhsa_kernarg_size 20
		.amdhsa_user_sgpr_count 6
		.amdhsa_user_sgpr_private_segment_buffer 1
		.amdhsa_user_sgpr_dispatch_ptr 0
		.amdhsa_user_sgpr_queue_ptr 0
		.amdhsa_user_sgpr_kernarg_segment_ptr 1
		.amdhsa_user_sgpr_dispatch_id 0
		.amdhsa_user_sgpr_flat_scratch_init 0
		.amdhsa_user_sgpr_kernarg_preload_length 0
		.amdhsa_user_sgpr_kernarg_preload_offset 0
		.amdhsa_user_sgpr_private_segment_size 0
		.amdhsa_uses_dynamic_stack 0
		.amdhsa_system_sgpr_private_segment_wavefront_offset 0
		.amdhsa_system_sgpr_workgroup_id_x 1
		.amdhsa_system_sgpr_workgroup_id_y 0
		.amdhsa_system_sgpr_workgroup_id_z 0
		.amdhsa_system_sgpr_workgroup_info 0
		.amdhsa_system_vgpr_workitem_id 0
		.amdhsa_next_free_vgpr 7
		.amdhsa_next_free_sgpr 8
		.amdhsa_accum_offset 8
		.amdhsa_reserve_vcc 1
		.amdhsa_reserve_flat_scratch 0
		.amdhsa_float_round_mode_32 0
		.amdhsa_float_round_mode_16_64 0
		.amdhsa_float_denorm_mode_32 3
		.amdhsa_float_denorm_mode_16_64 3
		.amdhsa_dx10_clamp 1
		.amdhsa_ieee_mode 1
		.amdhsa_fp16_overflow 0
		.amdhsa_tg_split 0
		.amdhsa_exception_fp_ieee_invalid_op 0
		.amdhsa_exception_fp_denorm_src 0
		.amdhsa_exception_fp_ieee_div_zero 0
		.amdhsa_exception_fp_ieee_overflow 0
		.amdhsa_exception_fp_ieee_underflow 0
		.amdhsa_exception_fp_ieee_inexact 0
		.amdhsa_exception_int_div_zero 0
	.end_amdhsa_kernel
	.section	.text._Z6kernelI14subtract_rightLj256ELj4ELb1EJPiS1_jEEvDpT3_,"axG",@progbits,_Z6kernelI14subtract_rightLj256ELj4ELb1EJPiS1_jEEvDpT3_,comdat
.Lfunc_end92:
	.size	_Z6kernelI14subtract_rightLj256ELj4ELb1EJPiS1_jEEvDpT3_, .Lfunc_end92-_Z6kernelI14subtract_rightLj256ELj4ELb1EJPiS1_jEEvDpT3_
                                        ; -- End function
	.section	.AMDGPU.csdata,"",@progbits
; Kernel info:
; codeLenInByte = 280
; NumSgprs: 12
; NumVgprs: 7
; NumAgprs: 0
; TotalNumVgprs: 7
; ScratchSize: 0
; MemoryBound: 0
; FloatMode: 240
; IeeeMode: 1
; LDSByteSize: 2048 bytes/workgroup (compile time only)
; SGPRBlocks: 1
; VGPRBlocks: 0
; NumSGPRsForWavesPerEU: 12
; NumVGPRsForWavesPerEU: 7
; AccumOffset: 8
; Occupancy: 8
; WaveLimiterHint : 1
; COMPUTE_PGM_RSRC2:SCRATCH_EN: 0
; COMPUTE_PGM_RSRC2:USER_SGPR: 6
; COMPUTE_PGM_RSRC2:TRAP_HANDLER: 0
; COMPUTE_PGM_RSRC2:TGID_X_EN: 1
; COMPUTE_PGM_RSRC2:TGID_Y_EN: 0
; COMPUTE_PGM_RSRC2:TGID_Z_EN: 0
; COMPUTE_PGM_RSRC2:TIDIG_COMP_CNT: 0
; COMPUTE_PGM_RSRC3_GFX90A:ACCUM_OFFSET: 1
; COMPUTE_PGM_RSRC3_GFX90A:TG_SPLIT: 0
	.section	.text._Z6kernelI14subtract_rightLj256ELj8ELb1EJPiS1_jEEvDpT3_,"axG",@progbits,_Z6kernelI14subtract_rightLj256ELj8ELb1EJPiS1_jEEvDpT3_,comdat
	.protected	_Z6kernelI14subtract_rightLj256ELj8ELb1EJPiS1_jEEvDpT3_ ; -- Begin function _Z6kernelI14subtract_rightLj256ELj8ELb1EJPiS1_jEEvDpT3_
	.globl	_Z6kernelI14subtract_rightLj256ELj8ELb1EJPiS1_jEEvDpT3_
	.p2align	8
	.type	_Z6kernelI14subtract_rightLj256ELj8ELb1EJPiS1_jEEvDpT3_,@function
_Z6kernelI14subtract_rightLj256ELj8ELb1EJPiS1_jEEvDpT3_: ; @_Z6kernelI14subtract_rightLj256ELj8ELb1EJPiS1_jEEvDpT3_
; %bb.0:
	s_load_dwordx4 s[0:3], s[4:5], 0x0
	s_load_dword s7, s[4:5], 0x10
	s_lshl_b32 s4, s6, 11
	s_mov_b32 s5, 0
	s_lshl_b64 s[4:5], s[4:5], 2
	s_waitcnt lgkmcnt(0)
	s_add_u32 s0, s0, s4
	s_addc_u32 s1, s1, s5
	v_lshlrev_b32_e32 v1, 2, v0
	v_mov_b32_e32 v2, s1
	v_add_co_u32_e32 v3, vcc, s0, v1
	v_addc_co_u32_e32 v2, vcc, 0, v2, vcc
	v_add_co_u32_e32 v10, vcc, 0x1000, v3
	v_addc_co_u32_e32 v11, vcc, 0, v2, vcc
	global_load_dword v9, v1, s[0:1]
	global_load_dword v8, v1, s[0:1] offset:1024
	global_load_dword v7, v1, s[0:1] offset:2048
	;; [unrolled: 1-line block ×3, first 2 shown]
	global_load_dword v5, v[10:11], off
	global_load_dword v4, v[10:11], off offset:1024
	global_load_dword v3, v[10:11], off offset:2048
	;; [unrolled: 1-line block ×3, first 2 shown]
	s_cmp_eq_u32 s7, 0
	s_cbranch_scc1 .LBB93_5
; %bb.1:
	s_movk_i32 s0, 0xff
	v_cmp_ne_u32_e32 vcc, s0, v0
	v_or_b32_e32 v0, 0x400, v1
	s_branch .LBB93_3
.LBB93_2:                               ;   in Loop: Header=BB93_3 Depth=1
	s_or_b64 exec, exec, s[0:1]
	v_lshlrev_b32_e32 v9, 1, v9
	s_waitcnt vmcnt(6)
	v_sub_u32_e32 v9, v9, v8
	v_lshlrev_b32_e32 v8, 1, v8
	s_waitcnt vmcnt(5)
	v_sub_u32_e32 v8, v8, v7
	;; [unrolled: 3-line block ×7, first 2 shown]
	v_lshlrev_b32_e32 v2, 1, v2
	s_add_i32 s7, s7, -1
	s_waitcnt lgkmcnt(0)
	v_sub_u32_e32 v2, v2, v10
	s_cmp_lg_u32 s7, 0
	s_barrier
	s_cbranch_scc0 .LBB93_5
.LBB93_3:                               ; =>This Inner Loop Header: Depth=1
	v_mov_b32_e32 v10, 0x7b
	s_waitcnt vmcnt(7)
	ds_write_b32 v1, v9 offset:1024
	s_waitcnt lgkmcnt(0)
	s_barrier
	s_and_saveexec_b64 s[0:1], vcc
	s_cbranch_execz .LBB93_2
; %bb.4:                                ;   in Loop: Header=BB93_3 Depth=1
	ds_read_b32 v10, v0 offset:4
	s_branch .LBB93_2
.LBB93_5:
	s_add_u32 s0, s2, s4
	s_addc_u32 s1, s3, s5
	v_mov_b32_e32 v0, s1
	v_add_co_u32_e32 v10, vcc, s0, v1
	v_addc_co_u32_e32 v11, vcc, 0, v0, vcc
	v_add_co_u32_e32 v0, vcc, 0x1000, v10
	s_waitcnt vmcnt(7)
	global_store_dword v1, v9, s[0:1]
	s_waitcnt vmcnt(7)
	global_store_dword v1, v8, s[0:1] offset:1024
	s_waitcnt vmcnt(7)
	global_store_dword v1, v7, s[0:1] offset:2048
	;; [unrolled: 2-line block ×3, first 2 shown]
	v_addc_co_u32_e32 v1, vcc, 0, v11, vcc
	s_waitcnt vmcnt(7)
	global_store_dword v[0:1], v5, off
	s_waitcnt vmcnt(7)
	global_store_dword v[0:1], v4, off offset:1024
	s_waitcnt vmcnt(7)
	global_store_dword v[0:1], v3, off offset:2048
	;; [unrolled: 2-line block ×3, first 2 shown]
	s_endpgm
	.section	.rodata,"a",@progbits
	.p2align	6, 0x0
	.amdhsa_kernel _Z6kernelI14subtract_rightLj256ELj8ELb1EJPiS1_jEEvDpT3_
		.amdhsa_group_segment_fixed_size 2048
		.amdhsa_private_segment_fixed_size 0
		.amdhsa_kernarg_size 20
		.amdhsa_user_sgpr_count 6
		.amdhsa_user_sgpr_private_segment_buffer 1
		.amdhsa_user_sgpr_dispatch_ptr 0
		.amdhsa_user_sgpr_queue_ptr 0
		.amdhsa_user_sgpr_kernarg_segment_ptr 1
		.amdhsa_user_sgpr_dispatch_id 0
		.amdhsa_user_sgpr_flat_scratch_init 0
		.amdhsa_user_sgpr_kernarg_preload_length 0
		.amdhsa_user_sgpr_kernarg_preload_offset 0
		.amdhsa_user_sgpr_private_segment_size 0
		.amdhsa_uses_dynamic_stack 0
		.amdhsa_system_sgpr_private_segment_wavefront_offset 0
		.amdhsa_system_sgpr_workgroup_id_x 1
		.amdhsa_system_sgpr_workgroup_id_y 0
		.amdhsa_system_sgpr_workgroup_id_z 0
		.amdhsa_system_sgpr_workgroup_info 0
		.amdhsa_system_vgpr_workitem_id 0
		.amdhsa_next_free_vgpr 12
		.amdhsa_next_free_sgpr 8
		.amdhsa_accum_offset 12
		.amdhsa_reserve_vcc 1
		.amdhsa_reserve_flat_scratch 0
		.amdhsa_float_round_mode_32 0
		.amdhsa_float_round_mode_16_64 0
		.amdhsa_float_denorm_mode_32 3
		.amdhsa_float_denorm_mode_16_64 3
		.amdhsa_dx10_clamp 1
		.amdhsa_ieee_mode 1
		.amdhsa_fp16_overflow 0
		.amdhsa_tg_split 0
		.amdhsa_exception_fp_ieee_invalid_op 0
		.amdhsa_exception_fp_denorm_src 0
		.amdhsa_exception_fp_ieee_div_zero 0
		.amdhsa_exception_fp_ieee_overflow 0
		.amdhsa_exception_fp_ieee_underflow 0
		.amdhsa_exception_fp_ieee_inexact 0
		.amdhsa_exception_int_div_zero 0
	.end_amdhsa_kernel
	.section	.text._Z6kernelI14subtract_rightLj256ELj8ELb1EJPiS1_jEEvDpT3_,"axG",@progbits,_Z6kernelI14subtract_rightLj256ELj8ELb1EJPiS1_jEEvDpT3_,comdat
.Lfunc_end93:
	.size	_Z6kernelI14subtract_rightLj256ELj8ELb1EJPiS1_jEEvDpT3_, .Lfunc_end93-_Z6kernelI14subtract_rightLj256ELj8ELb1EJPiS1_jEEvDpT3_
                                        ; -- End function
	.section	.AMDGPU.csdata,"",@progbits
; Kernel info:
; codeLenInByte = 456
; NumSgprs: 12
; NumVgprs: 12
; NumAgprs: 0
; TotalNumVgprs: 12
; ScratchSize: 0
; MemoryBound: 0
; FloatMode: 240
; IeeeMode: 1
; LDSByteSize: 2048 bytes/workgroup (compile time only)
; SGPRBlocks: 1
; VGPRBlocks: 1
; NumSGPRsForWavesPerEU: 12
; NumVGPRsForWavesPerEU: 12
; AccumOffset: 12
; Occupancy: 8
; WaveLimiterHint : 1
; COMPUTE_PGM_RSRC2:SCRATCH_EN: 0
; COMPUTE_PGM_RSRC2:USER_SGPR: 6
; COMPUTE_PGM_RSRC2:TRAP_HANDLER: 0
; COMPUTE_PGM_RSRC2:TGID_X_EN: 1
; COMPUTE_PGM_RSRC2:TGID_Y_EN: 0
; COMPUTE_PGM_RSRC2:TGID_Z_EN: 0
; COMPUTE_PGM_RSRC2:TIDIG_COMP_CNT: 0
; COMPUTE_PGM_RSRC3_GFX90A:ACCUM_OFFSET: 2
; COMPUTE_PGM_RSRC3_GFX90A:TG_SPLIT: 0
	.section	.text._Z6kernelI14subtract_rightLj256ELj16ELb1EJPiS1_jEEvDpT3_,"axG",@progbits,_Z6kernelI14subtract_rightLj256ELj16ELb1EJPiS1_jEEvDpT3_,comdat
	.protected	_Z6kernelI14subtract_rightLj256ELj16ELb1EJPiS1_jEEvDpT3_ ; -- Begin function _Z6kernelI14subtract_rightLj256ELj16ELb1EJPiS1_jEEvDpT3_
	.globl	_Z6kernelI14subtract_rightLj256ELj16ELb1EJPiS1_jEEvDpT3_
	.p2align	8
	.type	_Z6kernelI14subtract_rightLj256ELj16ELb1EJPiS1_jEEvDpT3_,@function
_Z6kernelI14subtract_rightLj256ELj16ELb1EJPiS1_jEEvDpT3_: ; @_Z6kernelI14subtract_rightLj256ELj16ELb1EJPiS1_jEEvDpT3_
; %bb.0:
	s_load_dwordx4 s[0:3], s[4:5], 0x0
	s_load_dword s7, s[4:5], 0x10
	s_lshl_b32 s4, s6, 12
	s_mov_b32 s5, 0
	s_lshl_b64 s[4:5], s[4:5], 2
	s_waitcnt lgkmcnt(0)
	s_add_u32 s0, s0, s4
	s_addc_u32 s1, s1, s5
	v_lshlrev_b32_e32 v1, 2, v0
	v_mov_b32_e32 v2, s1
	v_add_co_u32_e32 v6, vcc, s0, v1
	v_addc_co_u32_e32 v7, vcc, 0, v2, vcc
	s_movk_i32 s6, 0x1000
	v_add_co_u32_e32 v18, vcc, s6, v6
	v_addc_co_u32_e32 v19, vcc, 0, v7, vcc
	s_movk_i32 s6, 0x2000
	v_add_co_u32_e32 v20, vcc, s6, v6
	v_addc_co_u32_e32 v21, vcc, 0, v7, vcc
	v_add_co_u32_e32 v22, vcc, 0x3000, v6
	global_load_dword v5, v[20:21], off
	global_load_dword v4, v[20:21], off offset:1024
	global_load_dword v3, v[20:21], off offset:2048
	;; [unrolled: 1-line block ×3, first 2 shown]
	v_addc_co_u32_e32 v23, vcc, 0, v7, vcc
	global_load_dword v16, v1, s[0:1]
	global_load_dword v15, v1, s[0:1] offset:1024
	global_load_dword v14, v1, s[0:1] offset:2048
	;; [unrolled: 1-line block ×3, first 2 shown]
	global_load_dword v12, v[18:19], off offset:1024
	global_load_dword v11, v[18:19], off offset:2048
	;; [unrolled: 1-line block ×3, first 2 shown]
	global_load_dword v8, v[22:23], off
	global_load_dword v7, v[22:23], off offset:1024
	global_load_dword v6, v[22:23], off offset:2048
	global_load_dword v17, v[20:21], off offset:-4096
	global_load_dword v9, v[22:23], off offset:3072
	s_cmp_eq_u32 s7, 0
	s_cbranch_scc1 .LBB94_5
; %bb.1:
	s_movk_i32 s0, 0xff
	v_cmp_ne_u32_e32 vcc, s0, v0
	v_or_b32_e32 v0, 0x400, v1
	s_branch .LBB94_3
.LBB94_2:                               ;   in Loop: Header=BB94_3 Depth=1
	s_or_b64 exec, exec, s[0:1]
	s_waitcnt vmcnt(10)
	v_sub_u32_e32 v19, v16, v15
	s_waitcnt vmcnt(9)
	v_sub_u32_e32 v20, v15, v14
	;; [unrolled: 2-line block ×4, first 2 shown]
	v_sub_u32_e32 v23, v17, v12
	v_sub_u32_e32 v24, v12, v11
	;; [unrolled: 1-line block ×10, first 2 shown]
	s_waitcnt vmcnt(0)
	v_sub_u32_e32 v33, v6, v9
	s_waitcnt lgkmcnt(0)
	v_sub_u32_e32 v18, v9, v18
	s_add_i32 s7, s7, -1
	v_add_u32_e32 v16, v19, v16
	v_add_u32_e32 v15, v20, v15
	;; [unrolled: 1-line block ×16, first 2 shown]
	s_cmp_lg_u32 s7, 0
	s_barrier
	s_cbranch_scc0 .LBB94_5
.LBB94_3:                               ; =>This Inner Loop Header: Depth=1
	v_mov_b32_e32 v18, 0x7b
	s_waitcnt vmcnt(11)
	ds_write_b32 v1, v16 offset:1024
	s_waitcnt lgkmcnt(0)
	s_barrier
	s_and_saveexec_b64 s[0:1], vcc
	s_cbranch_execz .LBB94_2
; %bb.4:                                ;   in Loop: Header=BB94_3 Depth=1
	ds_read_b32 v18, v0 offset:4
	s_branch .LBB94_2
.LBB94_5:
	s_add_u32 s0, s2, s4
	s_addc_u32 s1, s3, s5
	v_mov_b32_e32 v0, s1
	v_add_co_u32_e32 v18, vcc, s0, v1
	v_addc_co_u32_e32 v19, vcc, 0, v0, vcc
	v_add_co_u32_e32 v0, vcc, 0x1000, v18
	s_waitcnt vmcnt(11)
	global_store_dword v1, v16, s[0:1]
	s_waitcnt vmcnt(11)
	global_store_dword v1, v15, s[0:1] offset:1024
	s_waitcnt vmcnt(11)
	global_store_dword v1, v14, s[0:1] offset:2048
	;; [unrolled: 2-line block ×3, first 2 shown]
	v_addc_co_u32_e32 v1, vcc, 0, v19, vcc
	s_waitcnt vmcnt(5)
	global_store_dword v[0:1], v17, off
	global_store_dword v[0:1], v12, off offset:1024
	global_store_dword v[0:1], v11, off offset:2048
	;; [unrolled: 1-line block ×3, first 2 shown]
	v_add_co_u32_e32 v0, vcc, 0x2000, v18
	v_addc_co_u32_e32 v1, vcc, 0, v19, vcc
	global_store_dword v[0:1], v5, off
	global_store_dword v[0:1], v4, off offset:1024
	global_store_dword v[0:1], v3, off offset:2048
	;; [unrolled: 1-line block ×3, first 2 shown]
	v_add_co_u32_e32 v0, vcc, 0x3000, v18
	v_addc_co_u32_e32 v1, vcc, 0, v19, vcc
	global_store_dword v[0:1], v8, off
	global_store_dword v[0:1], v7, off offset:1024
	global_store_dword v[0:1], v6, off offset:2048
	s_waitcnt vmcnt(15)
	global_store_dword v[0:1], v9, off offset:3072
	s_endpgm
	.section	.rodata,"a",@progbits
	.p2align	6, 0x0
	.amdhsa_kernel _Z6kernelI14subtract_rightLj256ELj16ELb1EJPiS1_jEEvDpT3_
		.amdhsa_group_segment_fixed_size 2048
		.amdhsa_private_segment_fixed_size 0
		.amdhsa_kernarg_size 20
		.amdhsa_user_sgpr_count 6
		.amdhsa_user_sgpr_private_segment_buffer 1
		.amdhsa_user_sgpr_dispatch_ptr 0
		.amdhsa_user_sgpr_queue_ptr 0
		.amdhsa_user_sgpr_kernarg_segment_ptr 1
		.amdhsa_user_sgpr_dispatch_id 0
		.amdhsa_user_sgpr_flat_scratch_init 0
		.amdhsa_user_sgpr_kernarg_preload_length 0
		.amdhsa_user_sgpr_kernarg_preload_offset 0
		.amdhsa_user_sgpr_private_segment_size 0
		.amdhsa_uses_dynamic_stack 0
		.amdhsa_system_sgpr_private_segment_wavefront_offset 0
		.amdhsa_system_sgpr_workgroup_id_x 1
		.amdhsa_system_sgpr_workgroup_id_y 0
		.amdhsa_system_sgpr_workgroup_id_z 0
		.amdhsa_system_sgpr_workgroup_info 0
		.amdhsa_system_vgpr_workitem_id 0
		.amdhsa_next_free_vgpr 34
		.amdhsa_next_free_sgpr 8
		.amdhsa_accum_offset 36
		.amdhsa_reserve_vcc 1
		.amdhsa_reserve_flat_scratch 0
		.amdhsa_float_round_mode_32 0
		.amdhsa_float_round_mode_16_64 0
		.amdhsa_float_denorm_mode_32 3
		.amdhsa_float_denorm_mode_16_64 3
		.amdhsa_dx10_clamp 1
		.amdhsa_ieee_mode 1
		.amdhsa_fp16_overflow 0
		.amdhsa_tg_split 0
		.amdhsa_exception_fp_ieee_invalid_op 0
		.amdhsa_exception_fp_denorm_src 0
		.amdhsa_exception_fp_ieee_div_zero 0
		.amdhsa_exception_fp_ieee_overflow 0
		.amdhsa_exception_fp_ieee_underflow 0
		.amdhsa_exception_fp_ieee_inexact 0
		.amdhsa_exception_int_div_zero 0
	.end_amdhsa_kernel
	.section	.text._Z6kernelI14subtract_rightLj256ELj16ELb1EJPiS1_jEEvDpT3_,"axG",@progbits,_Z6kernelI14subtract_rightLj256ELj16ELb1EJPiS1_jEEvDpT3_,comdat
.Lfunc_end94:
	.size	_Z6kernelI14subtract_rightLj256ELj16ELb1EJPiS1_jEEvDpT3_, .Lfunc_end94-_Z6kernelI14subtract_rightLj256ELj16ELb1EJPiS1_jEEvDpT3_
                                        ; -- End function
	.section	.AMDGPU.csdata,"",@progbits
; Kernel info:
; codeLenInByte = 680
; NumSgprs: 12
; NumVgprs: 34
; NumAgprs: 0
; TotalNumVgprs: 34
; ScratchSize: 0
; MemoryBound: 0
; FloatMode: 240
; IeeeMode: 1
; LDSByteSize: 2048 bytes/workgroup (compile time only)
; SGPRBlocks: 1
; VGPRBlocks: 4
; NumSGPRsForWavesPerEU: 12
; NumVGPRsForWavesPerEU: 34
; AccumOffset: 36
; Occupancy: 8
; WaveLimiterHint : 1
; COMPUTE_PGM_RSRC2:SCRATCH_EN: 0
; COMPUTE_PGM_RSRC2:USER_SGPR: 6
; COMPUTE_PGM_RSRC2:TRAP_HANDLER: 0
; COMPUTE_PGM_RSRC2:TGID_X_EN: 1
; COMPUTE_PGM_RSRC2:TGID_Y_EN: 0
; COMPUTE_PGM_RSRC2:TGID_Z_EN: 0
; COMPUTE_PGM_RSRC2:TIDIG_COMP_CNT: 0
; COMPUTE_PGM_RSRC3_GFX90A:ACCUM_OFFSET: 8
; COMPUTE_PGM_RSRC3_GFX90A:TG_SPLIT: 0
	.section	.text._Z6kernelI14subtract_rightLj256ELj32ELb1EJPiS1_jEEvDpT3_,"axG",@progbits,_Z6kernelI14subtract_rightLj256ELj32ELb1EJPiS1_jEEvDpT3_,comdat
	.protected	_Z6kernelI14subtract_rightLj256ELj32ELb1EJPiS1_jEEvDpT3_ ; -- Begin function _Z6kernelI14subtract_rightLj256ELj32ELb1EJPiS1_jEEvDpT3_
	.globl	_Z6kernelI14subtract_rightLj256ELj32ELb1EJPiS1_jEEvDpT3_
	.p2align	8
	.type	_Z6kernelI14subtract_rightLj256ELj32ELb1EJPiS1_jEEvDpT3_,@function
_Z6kernelI14subtract_rightLj256ELj32ELb1EJPiS1_jEEvDpT3_: ; @_Z6kernelI14subtract_rightLj256ELj32ELb1EJPiS1_jEEvDpT3_
; %bb.0:
	s_load_dwordx4 s[0:3], s[4:5], 0x0
	s_load_dword s7, s[4:5], 0x10
	s_lshl_b32 s4, s6, 13
	s_mov_b32 s5, 0
	s_lshl_b64 s[4:5], s[4:5], 2
	s_waitcnt lgkmcnt(0)
	s_add_u32 s0, s0, s4
	s_addc_u32 s1, s1, s5
	v_lshlrev_b32_e32 v1, 2, v0
	v_mov_b32_e32 v2, s1
	v_add_co_u32_e32 v17, vcc, s0, v1
	v_addc_co_u32_e32 v20, vcc, 0, v2, vcc
	s_movk_i32 s6, 0x1000
	v_add_co_u32_e32 v4, vcc, s6, v17
	v_addc_co_u32_e32 v5, vcc, 0, v20, vcc
	s_movk_i32 s6, 0x2000
	;; [unrolled: 3-line block ×4, first 2 shown]
	v_add_co_u32_e32 v18, vcc, s6, v17
	v_addc_co_u32_e32 v19, vcc, 0, v20, vcc
	global_load_dword v27, v1, s[0:1]
	global_load_dword v26, v1, s[0:1] offset:1024
	global_load_dword v25, v1, s[0:1] offset:2048
	;; [unrolled: 1-line block ×3, first 2 shown]
	global_load_dword v16, v[4:5], off offset:1024
	global_load_dword v15, v[4:5], off offset:2048
	;; [unrolled: 1-line block ×4, first 2 shown]
	global_load_dword v13, v[34:35], off
	global_load_dword v12, v[34:35], off offset:1024
	global_load_dword v11, v[34:35], off offset:2048
	;; [unrolled: 1-line block ×3, first 2 shown]
	global_load_dword v8, v[18:19], off offset:-4096
	global_load_dword v2, v[18:19], off
	s_movk_i32 s0, 0x5000
	v_add_co_u32_e32 v38, vcc, s0, v17
	v_addc_co_u32_e32 v39, vcc, 0, v20, vcc
	s_movk_i32 s0, 0x6000
	v_add_co_u32_e32 v28, vcc, s0, v17
	v_addc_co_u32_e32 v29, vcc, 0, v20, vcc
	v_add_co_u32_e32 v40, vcc, 0x7000, v17
	global_load_dword v23, v[18:19], off offset:1024
	global_load_dword v22, v[18:19], off offset:2048
	global_load_dword v21, v[18:19], off offset:3072
	global_load_dword v9, v[28:29], off offset:-4096
	global_load_dword v7, v[28:29], off
	global_load_dword v6, v[28:29], off offset:1024
	global_load_dword v5, v[28:29], off offset:2048
	;; [unrolled: 1-line block ×3, first 2 shown]
	v_addc_co_u32_e32 v41, vcc, 0, v20, vcc
	global_load_dword v32, v[36:37], off offset:2048
	global_load_dword v31, v[36:37], off offset:3072
	;; [unrolled: 1-line block ×5, first 2 shown]
	global_load_dword v19, v[40:41], off
	global_load_dword v18, v[40:41], off offset:1024
	global_load_dword v17, v[40:41], off offset:2048
	global_load_dword v33, v[34:35], off offset:-4096
	global_load_dword v20, v[40:41], off offset:3072
	s_cmp_eq_u32 s7, 0
	s_cbranch_scc1 .LBB95_5
; %bb.1:
	s_movk_i32 s0, 0xff
	v_cmp_ne_u32_e32 vcc, s0, v0
	v_or_b32_e32 v0, 0x400, v1
	s_branch .LBB95_3
.LBB95_2:                               ;   in Loop: Header=BB95_3 Depth=1
	s_or_b64 exec, exec, s[0:1]
	s_waitcnt vmcnt(30)
	v_sub_u32_e32 v35, v27, v26
	s_waitcnt vmcnt(29)
	v_sub_u32_e32 v36, v26, v25
	;; [unrolled: 2-line block ×4, first 2 shown]
	v_sub_u32_e32 v39, v33, v16
	v_sub_u32_e32 v40, v16, v15
	;; [unrolled: 1-line block ×23, first 2 shown]
	v_add_u32_e32 v27, v35, v27
	v_sub_u32_e32 v35, v4, v19
	v_add_u32_e32 v26, v36, v26
	v_sub_u32_e32 v36, v19, v18
	;; [unrolled: 2-line block ×3, first 2 shown]
	v_add_u32_e32 v24, v38, v24
	s_waitcnt vmcnt(0)
	v_sub_u32_e32 v38, v17, v20
	s_waitcnt lgkmcnt(0)
	v_sub_u32_e32 v34, v20, v34
	s_add_i32 s7, s7, -1
	v_add_u32_e32 v33, v39, v33
	v_add_u32_e32 v16, v40, v16
	;; [unrolled: 1-line block ×28, first 2 shown]
	s_cmp_lg_u32 s7, 0
	s_barrier
	s_cbranch_scc0 .LBB95_5
.LBB95_3:                               ; =>This Inner Loop Header: Depth=1
	v_mov_b32_e32 v34, 0x7b
	s_waitcnt vmcnt(31)
	ds_write_b32 v1, v27 offset:1024
	s_waitcnt lgkmcnt(0)
	s_barrier
	s_and_saveexec_b64 s[0:1], vcc
	s_cbranch_execz .LBB95_2
; %bb.4:                                ;   in Loop: Header=BB95_3 Depth=1
	ds_read_b32 v34, v0 offset:4
	s_branch .LBB95_2
.LBB95_5:
	s_add_u32 s0, s2, s4
	s_addc_u32 s1, s3, s5
	v_mov_b32_e32 v0, s1
	v_add_co_u32_e32 v34, vcc, s0, v1
	v_addc_co_u32_e32 v35, vcc, 0, v0, vcc
	v_add_co_u32_e32 v0, vcc, 0x1000, v34
	s_waitcnt vmcnt(31)
	global_store_dword v1, v27, s[0:1]
	s_waitcnt vmcnt(31)
	global_store_dword v1, v26, s[0:1] offset:1024
	s_waitcnt vmcnt(31)
	global_store_dword v1, v25, s[0:1] offset:2048
	;; [unrolled: 2-line block ×3, first 2 shown]
	v_addc_co_u32_e32 v1, vcc, 0, v35, vcc
	s_waitcnt vmcnt(5)
	global_store_dword v[0:1], v33, off
	global_store_dword v[0:1], v16, off offset:1024
	global_store_dword v[0:1], v15, off offset:2048
	global_store_dword v[0:1], v14, off offset:3072
	v_add_co_u32_e32 v0, vcc, 0x2000, v34
	v_addc_co_u32_e32 v1, vcc, 0, v35, vcc
	global_store_dword v[0:1], v13, off
	global_store_dword v[0:1], v12, off offset:1024
	global_store_dword v[0:1], v11, off offset:2048
	global_store_dword v[0:1], v10, off offset:3072
	v_add_co_u32_e32 v0, vcc, 0x3000, v34
	v_addc_co_u32_e32 v1, vcc, 0, v35, vcc
	global_store_dword v[0:1], v8, off
	global_store_dword v[0:1], v3, off offset:1024
	global_store_dword v[0:1], v32, off offset:2048
	global_store_dword v[0:1], v31, off offset:3072
	v_add_co_u32_e32 v0, vcc, 0x4000, v34
	v_addc_co_u32_e32 v1, vcc, 0, v35, vcc
	global_store_dword v[0:1], v2, off
	global_store_dword v[0:1], v23, off offset:1024
	global_store_dword v[0:1], v22, off offset:2048
	global_store_dword v[0:1], v21, off offset:3072
	v_add_co_u32_e32 v0, vcc, 0x5000, v34
	v_addc_co_u32_e32 v1, vcc, 0, v35, vcc
	global_store_dword v[0:1], v9, off
	global_store_dword v[0:1], v30, off offset:1024
	global_store_dword v[0:1], v29, off offset:2048
	global_store_dword v[0:1], v28, off offset:3072
	v_add_co_u32_e32 v0, vcc, 0x6000, v34
	v_addc_co_u32_e32 v1, vcc, 0, v35, vcc
	global_store_dword v[0:1], v7, off
	global_store_dword v[0:1], v6, off offset:1024
	global_store_dword v[0:1], v5, off offset:2048
	global_store_dword v[0:1], v4, off offset:3072
	v_add_co_u32_e32 v0, vcc, 0x7000, v34
	v_addc_co_u32_e32 v1, vcc, 0, v35, vcc
	global_store_dword v[0:1], v19, off
	global_store_dword v[0:1], v18, off offset:1024
	global_store_dword v[0:1], v17, off offset:2048
	s_waitcnt vmcnt(31)
	global_store_dword v[0:1], v20, off offset:3072
	s_endpgm
	.section	.rodata,"a",@progbits
	.p2align	6, 0x0
	.amdhsa_kernel _Z6kernelI14subtract_rightLj256ELj32ELb1EJPiS1_jEEvDpT3_
		.amdhsa_group_segment_fixed_size 2048
		.amdhsa_private_segment_fixed_size 0
		.amdhsa_kernarg_size 20
		.amdhsa_user_sgpr_count 6
		.amdhsa_user_sgpr_private_segment_buffer 1
		.amdhsa_user_sgpr_dispatch_ptr 0
		.amdhsa_user_sgpr_queue_ptr 0
		.amdhsa_user_sgpr_kernarg_segment_ptr 1
		.amdhsa_user_sgpr_dispatch_id 0
		.amdhsa_user_sgpr_flat_scratch_init 0
		.amdhsa_user_sgpr_kernarg_preload_length 0
		.amdhsa_user_sgpr_kernarg_preload_offset 0
		.amdhsa_user_sgpr_private_segment_size 0
		.amdhsa_uses_dynamic_stack 0
		.amdhsa_system_sgpr_private_segment_wavefront_offset 0
		.amdhsa_system_sgpr_workgroup_id_x 1
		.amdhsa_system_sgpr_workgroup_id_y 0
		.amdhsa_system_sgpr_workgroup_id_z 0
		.amdhsa_system_sgpr_workgroup_info 0
		.amdhsa_system_vgpr_workitem_id 0
		.amdhsa_next_free_vgpr 62
		.amdhsa_next_free_sgpr 8
		.amdhsa_accum_offset 64
		.amdhsa_reserve_vcc 1
		.amdhsa_reserve_flat_scratch 0
		.amdhsa_float_round_mode_32 0
		.amdhsa_float_round_mode_16_64 0
		.amdhsa_float_denorm_mode_32 3
		.amdhsa_float_denorm_mode_16_64 3
		.amdhsa_dx10_clamp 1
		.amdhsa_ieee_mode 1
		.amdhsa_fp16_overflow 0
		.amdhsa_tg_split 0
		.amdhsa_exception_fp_ieee_invalid_op 0
		.amdhsa_exception_fp_denorm_src 0
		.amdhsa_exception_fp_ieee_div_zero 0
		.amdhsa_exception_fp_ieee_overflow 0
		.amdhsa_exception_fp_ieee_underflow 0
		.amdhsa_exception_fp_ieee_inexact 0
		.amdhsa_exception_int_div_zero 0
	.end_amdhsa_kernel
	.section	.text._Z6kernelI14subtract_rightLj256ELj32ELb1EJPiS1_jEEvDpT3_,"axG",@progbits,_Z6kernelI14subtract_rightLj256ELj32ELb1EJPiS1_jEEvDpT3_,comdat
.Lfunc_end95:
	.size	_Z6kernelI14subtract_rightLj256ELj32ELb1EJPiS1_jEEvDpT3_, .Lfunc_end95-_Z6kernelI14subtract_rightLj256ELj32ELb1EJPiS1_jEEvDpT3_
                                        ; -- End function
	.section	.AMDGPU.csdata,"",@progbits
; Kernel info:
; codeLenInByte = 1160
; NumSgprs: 12
; NumVgprs: 62
; NumAgprs: 0
; TotalNumVgprs: 62
; ScratchSize: 0
; MemoryBound: 0
; FloatMode: 240
; IeeeMode: 1
; LDSByteSize: 2048 bytes/workgroup (compile time only)
; SGPRBlocks: 1
; VGPRBlocks: 7
; NumSGPRsForWavesPerEU: 12
; NumVGPRsForWavesPerEU: 62
; AccumOffset: 64
; Occupancy: 8
; WaveLimiterHint : 1
; COMPUTE_PGM_RSRC2:SCRATCH_EN: 0
; COMPUTE_PGM_RSRC2:USER_SGPR: 6
; COMPUTE_PGM_RSRC2:TRAP_HANDLER: 0
; COMPUTE_PGM_RSRC2:TGID_X_EN: 1
; COMPUTE_PGM_RSRC2:TGID_Y_EN: 0
; COMPUTE_PGM_RSRC2:TGID_Z_EN: 0
; COMPUTE_PGM_RSRC2:TIDIG_COMP_CNT: 0
; COMPUTE_PGM_RSRC3_GFX90A:ACCUM_OFFSET: 15
; COMPUTE_PGM_RSRC3_GFX90A:TG_SPLIT: 0
	.section	.text._Z6kernelI14subtract_rightLj256ELj1ELb1EJPfS1_jEEvDpT3_,"axG",@progbits,_Z6kernelI14subtract_rightLj256ELj1ELb1EJPfS1_jEEvDpT3_,comdat
	.protected	_Z6kernelI14subtract_rightLj256ELj1ELb1EJPfS1_jEEvDpT3_ ; -- Begin function _Z6kernelI14subtract_rightLj256ELj1ELb1EJPfS1_jEEvDpT3_
	.globl	_Z6kernelI14subtract_rightLj256ELj1ELb1EJPfS1_jEEvDpT3_
	.p2align	8
	.type	_Z6kernelI14subtract_rightLj256ELj1ELb1EJPfS1_jEEvDpT3_,@function
_Z6kernelI14subtract_rightLj256ELj1ELb1EJPfS1_jEEvDpT3_: ; @_Z6kernelI14subtract_rightLj256ELj1ELb1EJPfS1_jEEvDpT3_
; %bb.0:
	s_load_dwordx4 s[0:3], s[4:5], 0x0
	s_load_dword s7, s[4:5], 0x10
	s_lshl_b32 s4, s6, 8
	s_mov_b32 s5, 0
	s_lshl_b64 s[4:5], s[4:5], 2
	s_waitcnt lgkmcnt(0)
	s_add_u32 s0, s0, s4
	s_addc_u32 s1, s1, s5
	v_lshlrev_b32_e32 v1, 2, v0
	global_load_dword v2, v1, s[0:1]
	s_cmp_eq_u32 s7, 0
	s_cbranch_scc1 .LBB96_5
; %bb.1:
	s_movk_i32 s0, 0xff
	v_cmp_ne_u32_e32 vcc, s0, v0
	v_or_b32_e32 v0, 0x400, v1
	s_branch .LBB96_3
.LBB96_2:                               ;   in Loop: Header=BB96_3 Depth=1
	s_or_b64 exec, exec, s[0:1]
	s_waitcnt lgkmcnt(0)
	v_sub_f32_e32 v3, v2, v3
	s_add_i32 s7, s7, -1
	v_add_f32_e32 v2, v2, v3
	s_cmp_lg_u32 s7, 0
	s_barrier
	s_cbranch_scc0 .LBB96_5
.LBB96_3:                               ; =>This Inner Loop Header: Depth=1
	v_mov_b32_e32 v3, 0x42f60000
	s_waitcnt vmcnt(0)
	ds_write_b32 v1, v2 offset:1024
	s_waitcnt lgkmcnt(0)
	s_barrier
	s_and_saveexec_b64 s[0:1], vcc
	s_cbranch_execz .LBB96_2
; %bb.4:                                ;   in Loop: Header=BB96_3 Depth=1
	ds_read_b32 v3, v0 offset:4
	s_branch .LBB96_2
.LBB96_5:
	s_add_u32 s0, s2, s4
	s_addc_u32 s1, s3, s5
	s_waitcnt vmcnt(0)
	global_store_dword v1, v2, s[0:1]
	s_endpgm
	.section	.rodata,"a",@progbits
	.p2align	6, 0x0
	.amdhsa_kernel _Z6kernelI14subtract_rightLj256ELj1ELb1EJPfS1_jEEvDpT3_
		.amdhsa_group_segment_fixed_size 2048
		.amdhsa_private_segment_fixed_size 0
		.amdhsa_kernarg_size 20
		.amdhsa_user_sgpr_count 6
		.amdhsa_user_sgpr_private_segment_buffer 1
		.amdhsa_user_sgpr_dispatch_ptr 0
		.amdhsa_user_sgpr_queue_ptr 0
		.amdhsa_user_sgpr_kernarg_segment_ptr 1
		.amdhsa_user_sgpr_dispatch_id 0
		.amdhsa_user_sgpr_flat_scratch_init 0
		.amdhsa_user_sgpr_kernarg_preload_length 0
		.amdhsa_user_sgpr_kernarg_preload_offset 0
		.amdhsa_user_sgpr_private_segment_size 0
		.amdhsa_uses_dynamic_stack 0
		.amdhsa_system_sgpr_private_segment_wavefront_offset 0
		.amdhsa_system_sgpr_workgroup_id_x 1
		.amdhsa_system_sgpr_workgroup_id_y 0
		.amdhsa_system_sgpr_workgroup_id_z 0
		.amdhsa_system_sgpr_workgroup_info 0
		.amdhsa_system_vgpr_workitem_id 0
		.amdhsa_next_free_vgpr 4
		.amdhsa_next_free_sgpr 8
		.amdhsa_accum_offset 4
		.amdhsa_reserve_vcc 1
		.amdhsa_reserve_flat_scratch 0
		.amdhsa_float_round_mode_32 0
		.amdhsa_float_round_mode_16_64 0
		.amdhsa_float_denorm_mode_32 3
		.amdhsa_float_denorm_mode_16_64 3
		.amdhsa_dx10_clamp 1
		.amdhsa_ieee_mode 1
		.amdhsa_fp16_overflow 0
		.amdhsa_tg_split 0
		.amdhsa_exception_fp_ieee_invalid_op 0
		.amdhsa_exception_fp_denorm_src 0
		.amdhsa_exception_fp_ieee_div_zero 0
		.amdhsa_exception_fp_ieee_overflow 0
		.amdhsa_exception_fp_ieee_underflow 0
		.amdhsa_exception_fp_ieee_inexact 0
		.amdhsa_exception_int_div_zero 0
	.end_amdhsa_kernel
	.section	.text._Z6kernelI14subtract_rightLj256ELj1ELb1EJPfS1_jEEvDpT3_,"axG",@progbits,_Z6kernelI14subtract_rightLj256ELj1ELb1EJPfS1_jEEvDpT3_,comdat
.Lfunc_end96:
	.size	_Z6kernelI14subtract_rightLj256ELj1ELb1EJPfS1_jEEvDpT3_, .Lfunc_end96-_Z6kernelI14subtract_rightLj256ELj1ELb1EJPfS1_jEEvDpT3_
                                        ; -- End function
	.section	.AMDGPU.csdata,"",@progbits
; Kernel info:
; codeLenInByte = 184
; NumSgprs: 12
; NumVgprs: 4
; NumAgprs: 0
; TotalNumVgprs: 4
; ScratchSize: 0
; MemoryBound: 0
; FloatMode: 240
; IeeeMode: 1
; LDSByteSize: 2048 bytes/workgroup (compile time only)
; SGPRBlocks: 1
; VGPRBlocks: 0
; NumSGPRsForWavesPerEU: 12
; NumVGPRsForWavesPerEU: 4
; AccumOffset: 4
; Occupancy: 8
; WaveLimiterHint : 0
; COMPUTE_PGM_RSRC2:SCRATCH_EN: 0
; COMPUTE_PGM_RSRC2:USER_SGPR: 6
; COMPUTE_PGM_RSRC2:TRAP_HANDLER: 0
; COMPUTE_PGM_RSRC2:TGID_X_EN: 1
; COMPUTE_PGM_RSRC2:TGID_Y_EN: 0
; COMPUTE_PGM_RSRC2:TGID_Z_EN: 0
; COMPUTE_PGM_RSRC2:TIDIG_COMP_CNT: 0
; COMPUTE_PGM_RSRC3_GFX90A:ACCUM_OFFSET: 0
; COMPUTE_PGM_RSRC3_GFX90A:TG_SPLIT: 0
	.section	.text._Z6kernelI14subtract_rightLj256ELj3ELb1EJPfS1_jEEvDpT3_,"axG",@progbits,_Z6kernelI14subtract_rightLj256ELj3ELb1EJPfS1_jEEvDpT3_,comdat
	.protected	_Z6kernelI14subtract_rightLj256ELj3ELb1EJPfS1_jEEvDpT3_ ; -- Begin function _Z6kernelI14subtract_rightLj256ELj3ELb1EJPfS1_jEEvDpT3_
	.globl	_Z6kernelI14subtract_rightLj256ELj3ELb1EJPfS1_jEEvDpT3_
	.p2align	8
	.type	_Z6kernelI14subtract_rightLj256ELj3ELb1EJPfS1_jEEvDpT3_,@function
_Z6kernelI14subtract_rightLj256ELj3ELb1EJPfS1_jEEvDpT3_: ; @_Z6kernelI14subtract_rightLj256ELj3ELb1EJPfS1_jEEvDpT3_
; %bb.0:
	s_load_dwordx4 s[0:3], s[4:5], 0x0
	s_load_dword s7, s[4:5], 0x10
	s_mul_i32 s4, s6, 0x300
	s_mov_b32 s5, 0
	s_lshl_b64 s[4:5], s[4:5], 2
	s_waitcnt lgkmcnt(0)
	s_add_u32 s0, s0, s4
	s_addc_u32 s1, s1, s5
	v_lshlrev_b32_e32 v4, 2, v0
	global_load_dword v2, v4, s[0:1]
	global_load_dword v3, v4, s[0:1] offset:1024
	global_load_dword v1, v4, s[0:1] offset:2048
	s_cmp_eq_u32 s7, 0
	s_cbranch_scc1 .LBB97_5
; %bb.1:
	s_movk_i32 s0, 0xff
	v_cmp_ne_u32_e32 vcc, s0, v0
	v_or_b32_e32 v5, 0x400, v4
	s_branch .LBB97_3
.LBB97_2:                               ;   in Loop: Header=BB97_3 Depth=1
	s_or_b64 exec, exec, s[0:1]
	s_waitcnt vmcnt(1)
	v_mov_b32_e32 v0, v3
	s_waitcnt vmcnt(0)
	v_pk_add_f32 v[8:9], v[2:3], v[0:1] neg_lo:[0,1] neg_hi:[0,1]
	s_waitcnt lgkmcnt(0)
	v_sub_f32_e32 v0, v1, v6
	s_add_i32 s7, s7, -1
	v_pk_add_f32 v[2:3], v[2:3], v[8:9]
	v_add_f32_e32 v1, v1, v0
	s_cmp_lg_u32 s7, 0
	s_barrier
	s_cbranch_scc0 .LBB97_5
.LBB97_3:                               ; =>This Inner Loop Header: Depth=1
	v_mov_b32_e32 v6, 0x42f60000
	s_waitcnt vmcnt(2)
	ds_write_b32 v4, v2 offset:1024
	s_waitcnt lgkmcnt(0)
	s_barrier
	s_and_saveexec_b64 s[0:1], vcc
	s_cbranch_execz .LBB97_2
; %bb.4:                                ;   in Loop: Header=BB97_3 Depth=1
	ds_read_b32 v6, v5 offset:4
	s_branch .LBB97_2
.LBB97_5:
	s_add_u32 s0, s2, s4
	s_addc_u32 s1, s3, s5
	s_waitcnt vmcnt(2)
	global_store_dword v4, v2, s[0:1]
	s_waitcnt vmcnt(2)
	global_store_dword v4, v3, s[0:1] offset:1024
	s_waitcnt vmcnt(2)
	global_store_dword v4, v1, s[0:1] offset:2048
	s_endpgm
	.section	.rodata,"a",@progbits
	.p2align	6, 0x0
	.amdhsa_kernel _Z6kernelI14subtract_rightLj256ELj3ELb1EJPfS1_jEEvDpT3_
		.amdhsa_group_segment_fixed_size 2048
		.amdhsa_private_segment_fixed_size 0
		.amdhsa_kernarg_size 20
		.amdhsa_user_sgpr_count 6
		.amdhsa_user_sgpr_private_segment_buffer 1
		.amdhsa_user_sgpr_dispatch_ptr 0
		.amdhsa_user_sgpr_queue_ptr 0
		.amdhsa_user_sgpr_kernarg_segment_ptr 1
		.amdhsa_user_sgpr_dispatch_id 0
		.amdhsa_user_sgpr_flat_scratch_init 0
		.amdhsa_user_sgpr_kernarg_preload_length 0
		.amdhsa_user_sgpr_kernarg_preload_offset 0
		.amdhsa_user_sgpr_private_segment_size 0
		.amdhsa_uses_dynamic_stack 0
		.amdhsa_system_sgpr_private_segment_wavefront_offset 0
		.amdhsa_system_sgpr_workgroup_id_x 1
		.amdhsa_system_sgpr_workgroup_id_y 0
		.amdhsa_system_sgpr_workgroup_id_z 0
		.amdhsa_system_sgpr_workgroup_info 0
		.amdhsa_system_vgpr_workitem_id 0
		.amdhsa_next_free_vgpr 10
		.amdhsa_next_free_sgpr 8
		.amdhsa_accum_offset 12
		.amdhsa_reserve_vcc 1
		.amdhsa_reserve_flat_scratch 0
		.amdhsa_float_round_mode_32 0
		.amdhsa_float_round_mode_16_64 0
		.amdhsa_float_denorm_mode_32 3
		.amdhsa_float_denorm_mode_16_64 3
		.amdhsa_dx10_clamp 1
		.amdhsa_ieee_mode 1
		.amdhsa_fp16_overflow 0
		.amdhsa_tg_split 0
		.amdhsa_exception_fp_ieee_invalid_op 0
		.amdhsa_exception_fp_denorm_src 0
		.amdhsa_exception_fp_ieee_div_zero 0
		.amdhsa_exception_fp_ieee_overflow 0
		.amdhsa_exception_fp_ieee_underflow 0
		.amdhsa_exception_fp_ieee_inexact 0
		.amdhsa_exception_int_div_zero 0
	.end_amdhsa_kernel
	.section	.text._Z6kernelI14subtract_rightLj256ELj3ELb1EJPfS1_jEEvDpT3_,"axG",@progbits,_Z6kernelI14subtract_rightLj256ELj3ELb1EJPfS1_jEEvDpT3_,comdat
.Lfunc_end97:
	.size	_Z6kernelI14subtract_rightLj256ELj3ELb1EJPfS1_jEEvDpT3_, .Lfunc_end97-_Z6kernelI14subtract_rightLj256ELj3ELb1EJPfS1_jEEvDpT3_
                                        ; -- End function
	.section	.AMDGPU.csdata,"",@progbits
; Kernel info:
; codeLenInByte = 256
; NumSgprs: 12
; NumVgprs: 10
; NumAgprs: 0
; TotalNumVgprs: 10
; ScratchSize: 0
; MemoryBound: 0
; FloatMode: 240
; IeeeMode: 1
; LDSByteSize: 2048 bytes/workgroup (compile time only)
; SGPRBlocks: 1
; VGPRBlocks: 1
; NumSGPRsForWavesPerEU: 12
; NumVGPRsForWavesPerEU: 10
; AccumOffset: 12
; Occupancy: 8
; WaveLimiterHint : 1
; COMPUTE_PGM_RSRC2:SCRATCH_EN: 0
; COMPUTE_PGM_RSRC2:USER_SGPR: 6
; COMPUTE_PGM_RSRC2:TRAP_HANDLER: 0
; COMPUTE_PGM_RSRC2:TGID_X_EN: 1
; COMPUTE_PGM_RSRC2:TGID_Y_EN: 0
; COMPUTE_PGM_RSRC2:TGID_Z_EN: 0
; COMPUTE_PGM_RSRC2:TIDIG_COMP_CNT: 0
; COMPUTE_PGM_RSRC3_GFX90A:ACCUM_OFFSET: 2
; COMPUTE_PGM_RSRC3_GFX90A:TG_SPLIT: 0
	.section	.text._Z6kernelI14subtract_rightLj256ELj4ELb1EJPfS1_jEEvDpT3_,"axG",@progbits,_Z6kernelI14subtract_rightLj256ELj4ELb1EJPfS1_jEEvDpT3_,comdat
	.protected	_Z6kernelI14subtract_rightLj256ELj4ELb1EJPfS1_jEEvDpT3_ ; -- Begin function _Z6kernelI14subtract_rightLj256ELj4ELb1EJPfS1_jEEvDpT3_
	.globl	_Z6kernelI14subtract_rightLj256ELj4ELb1EJPfS1_jEEvDpT3_
	.p2align	8
	.type	_Z6kernelI14subtract_rightLj256ELj4ELb1EJPfS1_jEEvDpT3_,@function
_Z6kernelI14subtract_rightLj256ELj4ELb1EJPfS1_jEEvDpT3_: ; @_Z6kernelI14subtract_rightLj256ELj4ELb1EJPfS1_jEEvDpT3_
; %bb.0:
	s_load_dwordx4 s[0:3], s[4:5], 0x0
	s_load_dword s7, s[4:5], 0x10
	s_lshl_b32 s4, s6, 10
	s_mov_b32 s5, 0
	s_lshl_b64 s[4:5], s[4:5], 2
	s_waitcnt lgkmcnt(0)
	s_add_u32 s0, s0, s4
	s_addc_u32 s1, s1, s5
	v_lshlrev_b32_e32 v6, 2, v0
	global_load_dword v2, v6, s[0:1]
	global_load_dword v3, v6, s[0:1] offset:1024
	global_load_dword v5, v6, s[0:1] offset:2048
	;; [unrolled: 1-line block ×3, first 2 shown]
	s_cmp_eq_u32 s7, 0
	s_cbranch_scc1 .LBB98_5
; %bb.1:
	s_movk_i32 s0, 0xff
	v_cmp_ne_u32_e32 vcc, s0, v0
	v_or_b32_e32 v7, 0x400, v6
	s_branch .LBB98_3
.LBB98_2:                               ;   in Loop: Header=BB98_3 Depth=1
	s_or_b64 exec, exec, s[0:1]
	s_waitcnt vmcnt(2)
	v_mov_b32_e32 v4, v3
	s_waitcnt vmcnt(0)
	v_sub_f32_e32 v10, v5, v1
	s_waitcnt lgkmcnt(0)
	v_sub_f32_e32 v11, v1, v0
	v_mov_b32_e32 v0, v5
	v_pk_add_f32 v[8:9], v[2:3], v[4:5] neg_lo:[0,1] neg_hi:[0,1]
	v_pk_add_f32 v[0:1], v[0:1], v[10:11]
	s_add_i32 s7, s7, -1
	v_pk_add_f32 v[2:3], v[2:3], v[8:9]
	s_cmp_lg_u32 s7, 0
	v_mov_b32_e32 v5, v0
	s_barrier
	s_cbranch_scc0 .LBB98_5
.LBB98_3:                               ; =>This Inner Loop Header: Depth=1
	v_mov_b32_e32 v0, 0x42f60000
	s_waitcnt vmcnt(3)
	ds_write_b32 v6, v2 offset:1024
	s_waitcnt lgkmcnt(0)
	s_barrier
	s_and_saveexec_b64 s[0:1], vcc
	s_cbranch_execz .LBB98_2
; %bb.4:                                ;   in Loop: Header=BB98_3 Depth=1
	ds_read_b32 v0, v7 offset:4
	s_branch .LBB98_2
.LBB98_5:
	s_add_u32 s0, s2, s4
	s_addc_u32 s1, s3, s5
	s_waitcnt vmcnt(3)
	global_store_dword v6, v2, s[0:1]
	s_waitcnt vmcnt(3)
	global_store_dword v6, v3, s[0:1] offset:1024
	s_waitcnt vmcnt(3)
	global_store_dword v6, v5, s[0:1] offset:2048
	;; [unrolled: 2-line block ×3, first 2 shown]
	s_endpgm
	.section	.rodata,"a",@progbits
	.p2align	6, 0x0
	.amdhsa_kernel _Z6kernelI14subtract_rightLj256ELj4ELb1EJPfS1_jEEvDpT3_
		.amdhsa_group_segment_fixed_size 2048
		.amdhsa_private_segment_fixed_size 0
		.amdhsa_kernarg_size 20
		.amdhsa_user_sgpr_count 6
		.amdhsa_user_sgpr_private_segment_buffer 1
		.amdhsa_user_sgpr_dispatch_ptr 0
		.amdhsa_user_sgpr_queue_ptr 0
		.amdhsa_user_sgpr_kernarg_segment_ptr 1
		.amdhsa_user_sgpr_dispatch_id 0
		.amdhsa_user_sgpr_flat_scratch_init 0
		.amdhsa_user_sgpr_kernarg_preload_length 0
		.amdhsa_user_sgpr_kernarg_preload_offset 0
		.amdhsa_user_sgpr_private_segment_size 0
		.amdhsa_uses_dynamic_stack 0
		.amdhsa_system_sgpr_private_segment_wavefront_offset 0
		.amdhsa_system_sgpr_workgroup_id_x 1
		.amdhsa_system_sgpr_workgroup_id_y 0
		.amdhsa_system_sgpr_workgroup_id_z 0
		.amdhsa_system_sgpr_workgroup_info 0
		.amdhsa_system_vgpr_workitem_id 0
		.amdhsa_next_free_vgpr 12
		.amdhsa_next_free_sgpr 8
		.amdhsa_accum_offset 12
		.amdhsa_reserve_vcc 1
		.amdhsa_reserve_flat_scratch 0
		.amdhsa_float_round_mode_32 0
		.amdhsa_float_round_mode_16_64 0
		.amdhsa_float_denorm_mode_32 3
		.amdhsa_float_denorm_mode_16_64 3
		.amdhsa_dx10_clamp 1
		.amdhsa_ieee_mode 1
		.amdhsa_fp16_overflow 0
		.amdhsa_tg_split 0
		.amdhsa_exception_fp_ieee_invalid_op 0
		.amdhsa_exception_fp_denorm_src 0
		.amdhsa_exception_fp_ieee_div_zero 0
		.amdhsa_exception_fp_ieee_overflow 0
		.amdhsa_exception_fp_ieee_underflow 0
		.amdhsa_exception_fp_ieee_inexact 0
		.amdhsa_exception_int_div_zero 0
	.end_amdhsa_kernel
	.section	.text._Z6kernelI14subtract_rightLj256ELj4ELb1EJPfS1_jEEvDpT3_,"axG",@progbits,_Z6kernelI14subtract_rightLj256ELj4ELb1EJPfS1_jEEvDpT3_,comdat
.Lfunc_end98:
	.size	_Z6kernelI14subtract_rightLj256ELj4ELb1EJPfS1_jEEvDpT3_, .Lfunc_end98-_Z6kernelI14subtract_rightLj256ELj4ELb1EJPfS1_jEEvDpT3_
                                        ; -- End function
	.section	.AMDGPU.csdata,"",@progbits
; Kernel info:
; codeLenInByte = 288
; NumSgprs: 12
; NumVgprs: 12
; NumAgprs: 0
; TotalNumVgprs: 12
; ScratchSize: 0
; MemoryBound: 0
; FloatMode: 240
; IeeeMode: 1
; LDSByteSize: 2048 bytes/workgroup (compile time only)
; SGPRBlocks: 1
; VGPRBlocks: 1
; NumSGPRsForWavesPerEU: 12
; NumVGPRsForWavesPerEU: 12
; AccumOffset: 12
; Occupancy: 8
; WaveLimiterHint : 1
; COMPUTE_PGM_RSRC2:SCRATCH_EN: 0
; COMPUTE_PGM_RSRC2:USER_SGPR: 6
; COMPUTE_PGM_RSRC2:TRAP_HANDLER: 0
; COMPUTE_PGM_RSRC2:TGID_X_EN: 1
; COMPUTE_PGM_RSRC2:TGID_Y_EN: 0
; COMPUTE_PGM_RSRC2:TGID_Z_EN: 0
; COMPUTE_PGM_RSRC2:TIDIG_COMP_CNT: 0
; COMPUTE_PGM_RSRC3_GFX90A:ACCUM_OFFSET: 2
; COMPUTE_PGM_RSRC3_GFX90A:TG_SPLIT: 0
	.section	.text._Z6kernelI14subtract_rightLj256ELj8ELb1EJPfS1_jEEvDpT3_,"axG",@progbits,_Z6kernelI14subtract_rightLj256ELj8ELb1EJPfS1_jEEvDpT3_,comdat
	.protected	_Z6kernelI14subtract_rightLj256ELj8ELb1EJPfS1_jEEvDpT3_ ; -- Begin function _Z6kernelI14subtract_rightLj256ELj8ELb1EJPfS1_jEEvDpT3_
	.globl	_Z6kernelI14subtract_rightLj256ELj8ELb1EJPfS1_jEEvDpT3_
	.p2align	8
	.type	_Z6kernelI14subtract_rightLj256ELj8ELb1EJPfS1_jEEvDpT3_,@function
_Z6kernelI14subtract_rightLj256ELj8ELb1EJPfS1_jEEvDpT3_: ; @_Z6kernelI14subtract_rightLj256ELj8ELb1EJPfS1_jEEvDpT3_
; %bb.0:
	s_load_dwordx4 s[0:3], s[4:5], 0x0
	s_load_dword s7, s[4:5], 0x10
	s_lshl_b32 s4, s6, 11
	s_mov_b32 s5, 0
	s_lshl_b64 s[4:5], s[4:5], 2
	s_waitcnt lgkmcnt(0)
	s_add_u32 s0, s0, s4
	s_addc_u32 s1, s1, s5
	v_lshlrev_b32_e32 v14, 2, v0
	v_mov_b32_e32 v1, s1
	v_add_co_u32_e32 v2, vcc, s0, v14
	v_addc_co_u32_e32 v1, vcc, 0, v1, vcc
	v_add_co_u32_e32 v16, vcc, 0x1000, v2
	v_addc_co_u32_e32 v17, vcc, 0, v1, vcc
	global_load_dword v4, v14, s[0:1]
	global_load_dword v5, v14, s[0:1] offset:1024
	global_load_dword v13, v14, s[0:1] offset:2048
	;; [unrolled: 1-line block ×3, first 2 shown]
	global_load_dword v11, v[16:17], off
	global_load_dword v3, v[16:17], off offset:1024
	global_load_dword v9, v[16:17], off offset:2048
	global_load_dword v1, v[16:17], off offset:3072
	s_cmp_eq_u32 s7, 0
	s_cbranch_scc1 .LBB99_5
; %bb.1:
	s_movk_i32 s0, 0xff
	v_cmp_ne_u32_e32 vcc, s0, v0
	v_or_b32_e32 v15, 0x400, v14
	s_branch .LBB99_3
.LBB99_2:                               ;   in Loop: Header=BB99_3 Depth=1
	s_or_b64 exec, exec, s[0:1]
	s_waitcnt vmcnt(6)
	v_mov_b32_e32 v12, v5
	s_waitcnt vmcnt(5)
	v_mov_b32_e32 v6, v13
	;; [unrolled: 2-line block ×5, first 2 shown]
	v_pk_add_f32 v[16:17], v[4:5], v[12:13] neg_lo:[0,1] neg_hi:[0,1]
	v_pk_add_f32 v[12:13], v[6:7], v[10:11] neg_lo:[0,1] neg_hi:[0,1]
	s_waitcnt vmcnt(1)
	v_pk_add_f32 v[10:11], v[2:3], v[8:9] neg_lo:[0,1] neg_hi:[0,1]
	s_waitcnt vmcnt(0)
	v_sub_f32_e32 v18, v9, v1
	s_waitcnt lgkmcnt(0)
	v_sub_f32_e32 v19, v1, v0
	v_mov_b32_e32 v0, v9
	v_pk_add_f32 v[6:7], v[6:7], v[12:13]
	v_pk_add_f32 v[2:3], v[2:3], v[10:11]
	;; [unrolled: 1-line block ×3, first 2 shown]
	s_add_i32 s7, s7, -1
	v_pk_add_f32 v[4:5], v[4:5], v[16:17]
	v_mov_b32_e32 v13, v6
	v_mov_b32_e32 v11, v2
	s_cmp_lg_u32 s7, 0
	v_mov_b32_e32 v9, v0
	s_barrier
	s_cbranch_scc0 .LBB99_5
.LBB99_3:                               ; =>This Inner Loop Header: Depth=1
	v_mov_b32_e32 v0, 0x42f60000
	s_waitcnt vmcnt(7)
	ds_write_b32 v14, v4 offset:1024
	s_waitcnt lgkmcnt(0)
	s_barrier
	s_and_saveexec_b64 s[0:1], vcc
	s_cbranch_execz .LBB99_2
; %bb.4:                                ;   in Loop: Header=BB99_3 Depth=1
	ds_read_b32 v0, v15 offset:4
	s_branch .LBB99_2
.LBB99_5:
	s_add_u32 s0, s2, s4
	s_addc_u32 s1, s3, s5
	v_mov_b32_e32 v0, s1
	v_add_co_u32_e32 v2, vcc, s0, v14
	v_addc_co_u32_e32 v0, vcc, 0, v0, vcc
	s_waitcnt vmcnt(7)
	global_store_dword v14, v4, s[0:1]
	s_waitcnt vmcnt(7)
	global_store_dword v14, v5, s[0:1] offset:1024
	s_waitcnt vmcnt(7)
	global_store_dword v14, v13, s[0:1] offset:2048
	;; [unrolled: 2-line block ×3, first 2 shown]
	v_add_co_u32_e32 v4, vcc, 0x1000, v2
	v_addc_co_u32_e32 v5, vcc, 0, v0, vcc
	s_waitcnt vmcnt(7)
	global_store_dword v[4:5], v11, off
	s_waitcnt vmcnt(7)
	global_store_dword v[4:5], v3, off offset:1024
	s_waitcnt vmcnt(7)
	global_store_dword v[4:5], v9, off offset:2048
	;; [unrolled: 2-line block ×3, first 2 shown]
	s_endpgm
	.section	.rodata,"a",@progbits
	.p2align	6, 0x0
	.amdhsa_kernel _Z6kernelI14subtract_rightLj256ELj8ELb1EJPfS1_jEEvDpT3_
		.amdhsa_group_segment_fixed_size 2048
		.amdhsa_private_segment_fixed_size 0
		.amdhsa_kernarg_size 20
		.amdhsa_user_sgpr_count 6
		.amdhsa_user_sgpr_private_segment_buffer 1
		.amdhsa_user_sgpr_dispatch_ptr 0
		.amdhsa_user_sgpr_queue_ptr 0
		.amdhsa_user_sgpr_kernarg_segment_ptr 1
		.amdhsa_user_sgpr_dispatch_id 0
		.amdhsa_user_sgpr_flat_scratch_init 0
		.amdhsa_user_sgpr_kernarg_preload_length 0
		.amdhsa_user_sgpr_kernarg_preload_offset 0
		.amdhsa_user_sgpr_private_segment_size 0
		.amdhsa_uses_dynamic_stack 0
		.amdhsa_system_sgpr_private_segment_wavefront_offset 0
		.amdhsa_system_sgpr_workgroup_id_x 1
		.amdhsa_system_sgpr_workgroup_id_y 0
		.amdhsa_system_sgpr_workgroup_id_z 0
		.amdhsa_system_sgpr_workgroup_info 0
		.amdhsa_system_vgpr_workitem_id 0
		.amdhsa_next_free_vgpr 20
		.amdhsa_next_free_sgpr 8
		.amdhsa_accum_offset 20
		.amdhsa_reserve_vcc 1
		.amdhsa_reserve_flat_scratch 0
		.amdhsa_float_round_mode_32 0
		.amdhsa_float_round_mode_16_64 0
		.amdhsa_float_denorm_mode_32 3
		.amdhsa_float_denorm_mode_16_64 3
		.amdhsa_dx10_clamp 1
		.amdhsa_ieee_mode 1
		.amdhsa_fp16_overflow 0
		.amdhsa_tg_split 0
		.amdhsa_exception_fp_ieee_invalid_op 0
		.amdhsa_exception_fp_denorm_src 0
		.amdhsa_exception_fp_ieee_div_zero 0
		.amdhsa_exception_fp_ieee_overflow 0
		.amdhsa_exception_fp_ieee_underflow 0
		.amdhsa_exception_fp_ieee_inexact 0
		.amdhsa_exception_int_div_zero 0
	.end_amdhsa_kernel
	.section	.text._Z6kernelI14subtract_rightLj256ELj8ELb1EJPfS1_jEEvDpT3_,"axG",@progbits,_Z6kernelI14subtract_rightLj256ELj8ELb1EJPfS1_jEEvDpT3_,comdat
.Lfunc_end99:
	.size	_Z6kernelI14subtract_rightLj256ELj8ELb1EJPfS1_jEEvDpT3_, .Lfunc_end99-_Z6kernelI14subtract_rightLj256ELj8ELb1EJPfS1_jEEvDpT3_
                                        ; -- End function
	.section	.AMDGPU.csdata,"",@progbits
; Kernel info:
; codeLenInByte = 492
; NumSgprs: 12
; NumVgprs: 20
; NumAgprs: 0
; TotalNumVgprs: 20
; ScratchSize: 0
; MemoryBound: 0
; FloatMode: 240
; IeeeMode: 1
; LDSByteSize: 2048 bytes/workgroup (compile time only)
; SGPRBlocks: 1
; VGPRBlocks: 2
; NumSGPRsForWavesPerEU: 12
; NumVGPRsForWavesPerEU: 20
; AccumOffset: 20
; Occupancy: 8
; WaveLimiterHint : 1
; COMPUTE_PGM_RSRC2:SCRATCH_EN: 0
; COMPUTE_PGM_RSRC2:USER_SGPR: 6
; COMPUTE_PGM_RSRC2:TRAP_HANDLER: 0
; COMPUTE_PGM_RSRC2:TGID_X_EN: 1
; COMPUTE_PGM_RSRC2:TGID_Y_EN: 0
; COMPUTE_PGM_RSRC2:TGID_Z_EN: 0
; COMPUTE_PGM_RSRC2:TIDIG_COMP_CNT: 0
; COMPUTE_PGM_RSRC3_GFX90A:ACCUM_OFFSET: 4
; COMPUTE_PGM_RSRC3_GFX90A:TG_SPLIT: 0
	.section	.text._Z6kernelI14subtract_rightLj256ELj16ELb1EJPfS1_jEEvDpT3_,"axG",@progbits,_Z6kernelI14subtract_rightLj256ELj16ELb1EJPfS1_jEEvDpT3_,comdat
	.protected	_Z6kernelI14subtract_rightLj256ELj16ELb1EJPfS1_jEEvDpT3_ ; -- Begin function _Z6kernelI14subtract_rightLj256ELj16ELb1EJPfS1_jEEvDpT3_
	.globl	_Z6kernelI14subtract_rightLj256ELj16ELb1EJPfS1_jEEvDpT3_
	.p2align	8
	.type	_Z6kernelI14subtract_rightLj256ELj16ELb1EJPfS1_jEEvDpT3_,@function
_Z6kernelI14subtract_rightLj256ELj16ELb1EJPfS1_jEEvDpT3_: ; @_Z6kernelI14subtract_rightLj256ELj16ELb1EJPfS1_jEEvDpT3_
; %bb.0:
	s_load_dwordx4 s[0:3], s[4:5], 0x0
	s_load_dword s7, s[4:5], 0x10
	s_lshl_b32 s4, s6, 12
	s_mov_b32 s5, 0
	s_lshl_b64 s[4:5], s[4:5], 2
	s_waitcnt lgkmcnt(0)
	s_add_u32 s0, s0, s4
	s_addc_u32 s1, s1, s5
	v_lshlrev_b32_e32 v1, 2, v0
	v_mov_b32_e32 v2, s1
	v_add_co_u32_e32 v6, vcc, s0, v1
	v_addc_co_u32_e32 v7, vcc, 0, v2, vcc
	s_movk_i32 s6, 0x1000
	v_add_co_u32_e32 v18, vcc, s6, v6
	v_addc_co_u32_e32 v19, vcc, 0, v7, vcc
	s_movk_i32 s6, 0x2000
	v_add_co_u32_e32 v20, vcc, s6, v6
	v_addc_co_u32_e32 v21, vcc, 0, v7, vcc
	v_add_co_u32_e32 v22, vcc, 0x3000, v6
	global_load_dword v3, v[20:21], off
	global_load_dword v2, v[20:21], off offset:1024
	global_load_dword v5, v[20:21], off offset:2048
	;; [unrolled: 1-line block ×3, first 2 shown]
	v_addc_co_u32_e32 v23, vcc, 0, v7, vcc
	global_load_dword v14, v1, s[0:1]
	global_load_dword v15, v1, s[0:1] offset:1024
	global_load_dword v17, v1, s[0:1] offset:2048
	global_load_dword v16, v1, s[0:1] offset:3072
	global_load_dword v12, v[18:19], off offset:1024
	global_load_dword v11, v[18:19], off offset:2048
	;; [unrolled: 1-line block ×3, first 2 shown]
	global_load_dword v9, v[22:23], off
	global_load_dword v8, v[22:23], off offset:1024
	global_load_dword v7, v[22:23], off offset:2048
	global_load_dword v13, v[20:21], off offset:-4096
	global_load_dword v6, v[22:23], off offset:3072
	s_cmp_eq_u32 s7, 0
	s_cbranch_scc1 .LBB100_5
; %bb.1:
	s_movk_i32 s0, 0xff
	v_cmp_ne_u32_e32 vcc, s0, v0
	v_or_b32_e32 v0, 0x400, v1
	s_branch .LBB100_3
.LBB100_2:                              ;   in Loop: Header=BB100_3 Depth=1
	s_or_b64 exec, exec, s[0:1]
	s_waitcnt vmcnt(10)
	v_mov_b32_e32 v20, v15
	s_waitcnt vmcnt(9)
	v_mov_b32_e32 v21, v17
	s_waitcnt vmcnt(1)
	v_mov_b32_e32 v22, v13
	v_mov_b32_e32 v23, v16
	v_mov_b32_e32 v24, v11
	;; [unrolled: 1-line block ×11, first 2 shown]
	s_waitcnt vmcnt(0)
	v_pk_add_f32 v[34:35], v[6:7], v[6:7] op_sel_hi:[1,0] neg_lo:[0,1] neg_hi:[0,1]
	v_pk_add_f32 v[20:21], v[14:15], v[20:21] neg_lo:[0,1] neg_hi:[0,1]
	v_pk_add_f32 v[22:23], v[16:17], v[22:23] neg_lo:[0,1] neg_hi:[0,1]
	;; [unrolled: 1-line block ×7, first 2 shown]
	s_waitcnt lgkmcnt(0)
	v_sub_f32_e32 v34, v6, v18
	s_add_i32 s7, s7, -1
	v_pk_add_f32 v[14:15], v[14:15], v[20:21]
	v_pk_add_f32 v[16:17], v[16:17], v[22:23]
	;; [unrolled: 1-line block ×8, first 2 shown]
	s_cmp_lg_u32 s7, 0
	s_barrier
	s_cbranch_scc0 .LBB100_5
.LBB100_3:                              ; =>This Inner Loop Header: Depth=1
	v_mov_b32_e32 v18, 0x42f60000
	s_waitcnt vmcnt(11)
	ds_write_b32 v1, v14 offset:1024
	s_waitcnt lgkmcnt(0)
	s_barrier
	s_and_saveexec_b64 s[0:1], vcc
	s_cbranch_execz .LBB100_2
; %bb.4:                                ;   in Loop: Header=BB100_3 Depth=1
	ds_read_b32 v18, v0 offset:4
	s_branch .LBB100_2
.LBB100_5:
	s_add_u32 s0, s2, s4
	s_addc_u32 s1, s3, s5
	v_mov_b32_e32 v0, s1
	v_add_co_u32_e32 v18, vcc, s0, v1
	v_addc_co_u32_e32 v19, vcc, 0, v0, vcc
	v_add_co_u32_e32 v0, vcc, 0x1000, v18
	s_waitcnt vmcnt(11)
	global_store_dword v1, v14, s[0:1]
	s_waitcnt vmcnt(11)
	global_store_dword v1, v15, s[0:1] offset:1024
	s_waitcnt vmcnt(11)
	global_store_dword v1, v17, s[0:1] offset:2048
	;; [unrolled: 2-line block ×3, first 2 shown]
	v_addc_co_u32_e32 v1, vcc, 0, v19, vcc
	s_waitcnt vmcnt(5)
	global_store_dword v[0:1], v13, off
	global_store_dword v[0:1], v12, off offset:1024
	global_store_dword v[0:1], v11, off offset:2048
	;; [unrolled: 1-line block ×3, first 2 shown]
	v_add_co_u32_e32 v0, vcc, 0x2000, v18
	v_addc_co_u32_e32 v1, vcc, 0, v19, vcc
	global_store_dword v[0:1], v3, off
	global_store_dword v[0:1], v2, off offset:1024
	global_store_dword v[0:1], v5, off offset:2048
	;; [unrolled: 1-line block ×3, first 2 shown]
	v_add_co_u32_e32 v0, vcc, 0x3000, v18
	v_addc_co_u32_e32 v1, vcc, 0, v19, vcc
	global_store_dword v[0:1], v9, off
	global_store_dword v[0:1], v8, off offset:1024
	global_store_dword v[0:1], v7, off offset:2048
	s_waitcnt vmcnt(15)
	global_store_dword v[0:1], v6, off offset:3072
	s_endpgm
	.section	.rodata,"a",@progbits
	.p2align	6, 0x0
	.amdhsa_kernel _Z6kernelI14subtract_rightLj256ELj16ELb1EJPfS1_jEEvDpT3_
		.amdhsa_group_segment_fixed_size 2048
		.amdhsa_private_segment_fixed_size 0
		.amdhsa_kernarg_size 20
		.amdhsa_user_sgpr_count 6
		.amdhsa_user_sgpr_private_segment_buffer 1
		.amdhsa_user_sgpr_dispatch_ptr 0
		.amdhsa_user_sgpr_queue_ptr 0
		.amdhsa_user_sgpr_kernarg_segment_ptr 1
		.amdhsa_user_sgpr_dispatch_id 0
		.amdhsa_user_sgpr_flat_scratch_init 0
		.amdhsa_user_sgpr_kernarg_preload_length 0
		.amdhsa_user_sgpr_kernarg_preload_offset 0
		.amdhsa_user_sgpr_private_segment_size 0
		.amdhsa_uses_dynamic_stack 0
		.amdhsa_system_sgpr_private_segment_wavefront_offset 0
		.amdhsa_system_sgpr_workgroup_id_x 1
		.amdhsa_system_sgpr_workgroup_id_y 0
		.amdhsa_system_sgpr_workgroup_id_z 0
		.amdhsa_system_sgpr_workgroup_info 0
		.amdhsa_system_vgpr_workitem_id 0
		.amdhsa_next_free_vgpr 36
		.amdhsa_next_free_sgpr 8
		.amdhsa_accum_offset 36
		.amdhsa_reserve_vcc 1
		.amdhsa_reserve_flat_scratch 0
		.amdhsa_float_round_mode_32 0
		.amdhsa_float_round_mode_16_64 0
		.amdhsa_float_denorm_mode_32 3
		.amdhsa_float_denorm_mode_16_64 3
		.amdhsa_dx10_clamp 1
		.amdhsa_ieee_mode 1
		.amdhsa_fp16_overflow 0
		.amdhsa_tg_split 0
		.amdhsa_exception_fp_ieee_invalid_op 0
		.amdhsa_exception_fp_denorm_src 0
		.amdhsa_exception_fp_ieee_div_zero 0
		.amdhsa_exception_fp_ieee_overflow 0
		.amdhsa_exception_fp_ieee_underflow 0
		.amdhsa_exception_fp_ieee_inexact 0
		.amdhsa_exception_int_div_zero 0
	.end_amdhsa_kernel
	.section	.text._Z6kernelI14subtract_rightLj256ELj16ELb1EJPfS1_jEEvDpT3_,"axG",@progbits,_Z6kernelI14subtract_rightLj256ELj16ELb1EJPfS1_jEEvDpT3_,comdat
.Lfunc_end100:
	.size	_Z6kernelI14subtract_rightLj256ELj16ELb1EJPfS1_jEEvDpT3_, .Lfunc_end100-_Z6kernelI14subtract_rightLj256ELj16ELb1EJPfS1_jEEvDpT3_
                                        ; -- End function
	.section	.AMDGPU.csdata,"",@progbits
; Kernel info:
; codeLenInByte = 736
; NumSgprs: 12
; NumVgprs: 36
; NumAgprs: 0
; TotalNumVgprs: 36
; ScratchSize: 0
; MemoryBound: 0
; FloatMode: 240
; IeeeMode: 1
; LDSByteSize: 2048 bytes/workgroup (compile time only)
; SGPRBlocks: 1
; VGPRBlocks: 4
; NumSGPRsForWavesPerEU: 12
; NumVGPRsForWavesPerEU: 36
; AccumOffset: 36
; Occupancy: 8
; WaveLimiterHint : 1
; COMPUTE_PGM_RSRC2:SCRATCH_EN: 0
; COMPUTE_PGM_RSRC2:USER_SGPR: 6
; COMPUTE_PGM_RSRC2:TRAP_HANDLER: 0
; COMPUTE_PGM_RSRC2:TGID_X_EN: 1
; COMPUTE_PGM_RSRC2:TGID_Y_EN: 0
; COMPUTE_PGM_RSRC2:TGID_Z_EN: 0
; COMPUTE_PGM_RSRC2:TIDIG_COMP_CNT: 0
; COMPUTE_PGM_RSRC3_GFX90A:ACCUM_OFFSET: 8
; COMPUTE_PGM_RSRC3_GFX90A:TG_SPLIT: 0
	.section	.text._Z6kernelI14subtract_rightLj256ELj32ELb1EJPfS1_jEEvDpT3_,"axG",@progbits,_Z6kernelI14subtract_rightLj256ELj32ELb1EJPfS1_jEEvDpT3_,comdat
	.protected	_Z6kernelI14subtract_rightLj256ELj32ELb1EJPfS1_jEEvDpT3_ ; -- Begin function _Z6kernelI14subtract_rightLj256ELj32ELb1EJPfS1_jEEvDpT3_
	.globl	_Z6kernelI14subtract_rightLj256ELj32ELb1EJPfS1_jEEvDpT3_
	.p2align	8
	.type	_Z6kernelI14subtract_rightLj256ELj32ELb1EJPfS1_jEEvDpT3_,@function
_Z6kernelI14subtract_rightLj256ELj32ELb1EJPfS1_jEEvDpT3_: ; @_Z6kernelI14subtract_rightLj256ELj32ELb1EJPfS1_jEEvDpT3_
; %bb.0:
	s_load_dwordx4 s[0:3], s[4:5], 0x0
	s_load_dword s7, s[4:5], 0x10
	s_lshl_b32 s4, s6, 13
	s_mov_b32 s5, 0
	s_lshl_b64 s[4:5], s[4:5], 2
	s_waitcnt lgkmcnt(0)
	s_add_u32 s0, s0, s4
	s_addc_u32 s1, s1, s5
	v_lshlrev_b32_e32 v1, 2, v0
	v_mov_b32_e32 v2, s1
	v_add_co_u32_e32 v14, vcc, s0, v1
	v_addc_co_u32_e32 v21, vcc, 0, v2, vcc
	s_movk_i32 s6, 0x1000
	v_add_co_u32_e32 v6, vcc, s6, v14
	v_addc_co_u32_e32 v7, vcc, 0, v21, vcc
	s_movk_i32 s6, 0x2000
	;; [unrolled: 3-line block ×4, first 2 shown]
	v_add_co_u32_e32 v18, vcc, s6, v14
	v_addc_co_u32_e32 v19, vcc, 0, v21, vcc
	global_load_dword v26, v1, s[0:1]
	global_load_dword v27, v1, s[0:1] offset:1024
	global_load_dword v29, v1, s[0:1] offset:2048
	;; [unrolled: 1-line block ×3, first 2 shown]
	global_load_dword v20, v[6:7], off offset:1024
	global_load_dword v17, v[6:7], off offset:2048
	;; [unrolled: 1-line block ×4, first 2 shown]
	global_load_dword v11, v[34:35], off
	global_load_dword v10, v[34:35], off offset:1024
	global_load_dword v13, v[34:35], off offset:2048
	;; [unrolled: 1-line block ×3, first 2 shown]
	global_load_dword v5, v[18:19], off offset:-4096
	global_load_dword v3, v[18:19], off
	s_movk_i32 s0, 0x5000
	v_add_co_u32_e32 v38, vcc, s0, v14
	v_addc_co_u32_e32 v39, vcc, 0, v21, vcc
	s_movk_i32 s0, 0x6000
	v_add_co_u32_e32 v22, vcc, s0, v14
	v_addc_co_u32_e32 v23, vcc, 0, v21, vcc
	v_add_co_u32_e32 v40, vcc, 0x7000, v14
	global_load_dword v2, v[18:19], off offset:1024
	global_load_dword v25, v[18:19], off offset:2048
	;; [unrolled: 1-line block ×3, first 2 shown]
	global_load_dword v15, v[22:23], off offset:-4096
	global_load_dword v7, v[22:23], off
	global_load_dword v6, v[22:23], off offset:1024
	global_load_dword v9, v[22:23], off offset:2048
	;; [unrolled: 1-line block ×3, first 2 shown]
	v_addc_co_u32_e32 v41, vcc, 0, v21, vcc
	global_load_dword v33, v[36:37], off offset:2048
	global_load_dword v32, v[36:37], off offset:3072
	;; [unrolled: 1-line block ×5, first 2 shown]
	global_load_dword v23, v[40:41], off
	global_load_dword v22, v[40:41], off offset:1024
	global_load_dword v19, v[40:41], off offset:2048
	global_load_dword v21, v[34:35], off offset:-4096
	global_load_dword v18, v[40:41], off offset:3072
	s_cmp_eq_u32 s7, 0
	s_cbranch_scc1 .LBB101_5
; %bb.1:
	s_movk_i32 s0, 0xff
	v_cmp_ne_u32_e32 vcc, s0, v0
	v_or_b32_e32 v0, 0x400, v1
	s_branch .LBB101_3
.LBB101_2:                              ;   in Loop: Header=BB101_3 Depth=1
	s_or_b64 exec, exec, s[0:1]
	s_waitcnt vmcnt(30)
	v_mov_b32_e32 v36, v27
	s_waitcnt vmcnt(29)
	v_mov_b32_e32 v37, v29
	;; [unrolled: 2-line block ×3, first 2 shown]
	v_mov_b32_e32 v39, v28
	v_pk_add_f32 v[36:37], v[26:27], v[36:37] neg_lo:[0,1] neg_hi:[0,1]
	v_pk_add_f32 v[38:39], v[28:29], v[38:39] neg_lo:[0,1] neg_hi:[0,1]
	s_waitcnt vmcnt(0)
	v_pk_add_f32 v[60:61], v[18:19], v[18:19] op_sel_hi:[1,0] neg_lo:[0,1] neg_hi:[0,1]
	v_mov_b32_e32 v40, v17
	v_mov_b32_e32 v41, v20
	;; [unrolled: 1-line block ×20, first 2 shown]
	s_waitcnt lgkmcnt(0)
	v_sub_f32_e32 v60, v18, v34
	v_mov_b32_e32 v34, v9
	v_mov_b32_e32 v35, v6
	v_pk_add_f32 v[26:27], v[26:27], v[36:37]
	v_mov_b32_e32 v36, v23
	v_mov_b32_e32 v37, v8
	v_pk_add_f32 v[28:29], v[28:29], v[38:39]
	v_mov_b32_e32 v38, v19
	v_mov_b32_e32 v39, v22
	v_pk_add_f32 v[40:41], v[20:21], v[40:41] neg_lo:[0,1] neg_hi:[0,1]
	v_pk_add_f32 v[42:43], v[16:17], v[42:43] neg_lo:[0,1] neg_hi:[0,1]
	;; [unrolled: 1-line block ×13, first 2 shown]
	s_add_i32 s7, s7, -1
	v_pk_add_f32 v[20:21], v[20:21], v[40:41]
	v_pk_add_f32 v[16:17], v[16:17], v[42:43]
	;; [unrolled: 1-line block ×14, first 2 shown]
	s_cmp_lg_u32 s7, 0
	s_barrier
	s_cbranch_scc0 .LBB101_5
.LBB101_3:                              ; =>This Inner Loop Header: Depth=1
	v_mov_b32_e32 v34, 0x42f60000
	s_waitcnt vmcnt(31)
	ds_write_b32 v1, v26 offset:1024
	s_waitcnt lgkmcnt(0)
	s_barrier
	s_and_saveexec_b64 s[0:1], vcc
	s_cbranch_execz .LBB101_2
; %bb.4:                                ;   in Loop: Header=BB101_3 Depth=1
	ds_read_b32 v34, v0 offset:4
	s_branch .LBB101_2
.LBB101_5:
	s_add_u32 s0, s2, s4
	s_addc_u32 s1, s3, s5
	v_mov_b32_e32 v0, s1
	v_add_co_u32_e32 v34, vcc, s0, v1
	v_addc_co_u32_e32 v35, vcc, 0, v0, vcc
	v_add_co_u32_e32 v0, vcc, 0x1000, v34
	s_waitcnt vmcnt(31)
	global_store_dword v1, v26, s[0:1]
	s_waitcnt vmcnt(31)
	global_store_dword v1, v27, s[0:1] offset:1024
	s_waitcnt vmcnt(31)
	global_store_dword v1, v29, s[0:1] offset:2048
	;; [unrolled: 2-line block ×3, first 2 shown]
	v_addc_co_u32_e32 v1, vcc, 0, v35, vcc
	s_waitcnt vmcnt(5)
	global_store_dword v[0:1], v21, off
	global_store_dword v[0:1], v20, off offset:1024
	global_store_dword v[0:1], v17, off offset:2048
	global_store_dword v[0:1], v16, off offset:3072
	v_add_co_u32_e32 v0, vcc, 0x2000, v34
	v_addc_co_u32_e32 v1, vcc, 0, v35, vcc
	global_store_dword v[0:1], v11, off
	global_store_dword v[0:1], v10, off offset:1024
	global_store_dword v[0:1], v13, off offset:2048
	global_store_dword v[0:1], v12, off offset:3072
	v_add_co_u32_e32 v0, vcc, 0x3000, v34
	v_addc_co_u32_e32 v1, vcc, 0, v35, vcc
	;; [unrolled: 6-line block ×6, first 2 shown]
	global_store_dword v[0:1], v23, off
	global_store_dword v[0:1], v22, off offset:1024
	global_store_dword v[0:1], v19, off offset:2048
	s_waitcnt vmcnt(31)
	global_store_dword v[0:1], v18, off offset:3072
	s_endpgm
	.section	.rodata,"a",@progbits
	.p2align	6, 0x0
	.amdhsa_kernel _Z6kernelI14subtract_rightLj256ELj32ELb1EJPfS1_jEEvDpT3_
		.amdhsa_group_segment_fixed_size 2048
		.amdhsa_private_segment_fixed_size 0
		.amdhsa_kernarg_size 20
		.amdhsa_user_sgpr_count 6
		.amdhsa_user_sgpr_private_segment_buffer 1
		.amdhsa_user_sgpr_dispatch_ptr 0
		.amdhsa_user_sgpr_queue_ptr 0
		.amdhsa_user_sgpr_kernarg_segment_ptr 1
		.amdhsa_user_sgpr_dispatch_id 0
		.amdhsa_user_sgpr_flat_scratch_init 0
		.amdhsa_user_sgpr_kernarg_preload_length 0
		.amdhsa_user_sgpr_kernarg_preload_offset 0
		.amdhsa_user_sgpr_private_segment_size 0
		.amdhsa_uses_dynamic_stack 0
		.amdhsa_system_sgpr_private_segment_wavefront_offset 0
		.amdhsa_system_sgpr_workgroup_id_x 1
		.amdhsa_system_sgpr_workgroup_id_y 0
		.amdhsa_system_sgpr_workgroup_id_z 0
		.amdhsa_system_sgpr_workgroup_info 0
		.amdhsa_system_vgpr_workitem_id 0
		.amdhsa_next_free_vgpr 62
		.amdhsa_next_free_sgpr 8
		.amdhsa_accum_offset 64
		.amdhsa_reserve_vcc 1
		.amdhsa_reserve_flat_scratch 0
		.amdhsa_float_round_mode_32 0
		.amdhsa_float_round_mode_16_64 0
		.amdhsa_float_denorm_mode_32 3
		.amdhsa_float_denorm_mode_16_64 3
		.amdhsa_dx10_clamp 1
		.amdhsa_ieee_mode 1
		.amdhsa_fp16_overflow 0
		.amdhsa_tg_split 0
		.amdhsa_exception_fp_ieee_invalid_op 0
		.amdhsa_exception_fp_denorm_src 0
		.amdhsa_exception_fp_ieee_div_zero 0
		.amdhsa_exception_fp_ieee_overflow 0
		.amdhsa_exception_fp_ieee_underflow 0
		.amdhsa_exception_fp_ieee_inexact 0
		.amdhsa_exception_int_div_zero 0
	.end_amdhsa_kernel
	.section	.text._Z6kernelI14subtract_rightLj256ELj32ELb1EJPfS1_jEEvDpT3_,"axG",@progbits,_Z6kernelI14subtract_rightLj256ELj32ELb1EJPfS1_jEEvDpT3_,comdat
.Lfunc_end101:
	.size	_Z6kernelI14subtract_rightLj256ELj32ELb1EJPfS1_jEEvDpT3_, .Lfunc_end101-_Z6kernelI14subtract_rightLj256ELj32ELb1EJPfS1_jEEvDpT3_
                                        ; -- End function
	.section	.AMDGPU.csdata,"",@progbits
; Kernel info:
; codeLenInByte = 1280
; NumSgprs: 12
; NumVgprs: 62
; NumAgprs: 0
; TotalNumVgprs: 62
; ScratchSize: 0
; MemoryBound: 0
; FloatMode: 240
; IeeeMode: 1
; LDSByteSize: 2048 bytes/workgroup (compile time only)
; SGPRBlocks: 1
; VGPRBlocks: 7
; NumSGPRsForWavesPerEU: 12
; NumVGPRsForWavesPerEU: 62
; AccumOffset: 64
; Occupancy: 8
; WaveLimiterHint : 1
; COMPUTE_PGM_RSRC2:SCRATCH_EN: 0
; COMPUTE_PGM_RSRC2:USER_SGPR: 6
; COMPUTE_PGM_RSRC2:TRAP_HANDLER: 0
; COMPUTE_PGM_RSRC2:TGID_X_EN: 1
; COMPUTE_PGM_RSRC2:TGID_Y_EN: 0
; COMPUTE_PGM_RSRC2:TGID_Z_EN: 0
; COMPUTE_PGM_RSRC2:TIDIG_COMP_CNT: 0
; COMPUTE_PGM_RSRC3_GFX90A:ACCUM_OFFSET: 15
; COMPUTE_PGM_RSRC3_GFX90A:TG_SPLIT: 0
	.section	.text._Z6kernelI14subtract_rightLj256ELj1ELb1EJPaS1_jEEvDpT3_,"axG",@progbits,_Z6kernelI14subtract_rightLj256ELj1ELb1EJPaS1_jEEvDpT3_,comdat
	.protected	_Z6kernelI14subtract_rightLj256ELj1ELb1EJPaS1_jEEvDpT3_ ; -- Begin function _Z6kernelI14subtract_rightLj256ELj1ELb1EJPaS1_jEEvDpT3_
	.globl	_Z6kernelI14subtract_rightLj256ELj1ELb1EJPaS1_jEEvDpT3_
	.p2align	8
	.type	_Z6kernelI14subtract_rightLj256ELj1ELb1EJPaS1_jEEvDpT3_,@function
_Z6kernelI14subtract_rightLj256ELj1ELb1EJPaS1_jEEvDpT3_: ; @_Z6kernelI14subtract_rightLj256ELj1ELb1EJPaS1_jEEvDpT3_
; %bb.0:
	s_load_dwordx4 s[0:3], s[4:5], 0x0
	s_load_dword s7, s[4:5], 0x10
	s_lshl_b32 s4, s6, 8
	s_waitcnt lgkmcnt(0)
	s_add_u32 s0, s0, s4
	s_addc_u32 s1, s1, 0
	global_load_ubyte v1, v0, s[0:1]
	s_cmp_eq_u32 s7, 0
	s_cbranch_scc1 .LBB102_5
; %bb.1:
	s_movk_i32 s0, 0xff
	v_cmp_ne_u32_e32 vcc, s0, v0
	s_branch .LBB102_3
.LBB102_2:                              ;   in Loop: Header=BB102_3 Depth=1
	s_or_b64 exec, exec, s[0:1]
	v_lshlrev_b16_e32 v1, 1, v1
	s_add_i32 s7, s7, -1
	s_waitcnt lgkmcnt(0)
	v_sub_u16_e32 v1, v1, v2
	s_cmp_lg_u32 s7, 0
	s_barrier
	s_cbranch_scc0 .LBB102_5
.LBB102_3:                              ; =>This Inner Loop Header: Depth=1
	v_mov_b32_e32 v2, 0x7b
	s_waitcnt vmcnt(0)
	ds_write_b8 v0, v1 offset:256
	s_waitcnt lgkmcnt(0)
	s_barrier
	s_and_saveexec_b64 s[0:1], vcc
	s_cbranch_execz .LBB102_2
; %bb.4:                                ;   in Loop: Header=BB102_3 Depth=1
	ds_read_u8 v2, v0 offset:257
	s_branch .LBB102_2
.LBB102_5:
	s_add_u32 s0, s2, s4
	s_addc_u32 s1, s3, 0
	v_mov_b32_e32 v3, s1
	v_add_co_u32_e32 v2, vcc, s0, v0
	v_addc_co_u32_e32 v3, vcc, 0, v3, vcc
	s_waitcnt vmcnt(0)
	global_store_byte v[2:3], v1, off
	s_endpgm
	.section	.rodata,"a",@progbits
	.p2align	6, 0x0
	.amdhsa_kernel _Z6kernelI14subtract_rightLj256ELj1ELb1EJPaS1_jEEvDpT3_
		.amdhsa_group_segment_fixed_size 512
		.amdhsa_private_segment_fixed_size 0
		.amdhsa_kernarg_size 20
		.amdhsa_user_sgpr_count 6
		.amdhsa_user_sgpr_private_segment_buffer 1
		.amdhsa_user_sgpr_dispatch_ptr 0
		.amdhsa_user_sgpr_queue_ptr 0
		.amdhsa_user_sgpr_kernarg_segment_ptr 1
		.amdhsa_user_sgpr_dispatch_id 0
		.amdhsa_user_sgpr_flat_scratch_init 0
		.amdhsa_user_sgpr_kernarg_preload_length 0
		.amdhsa_user_sgpr_kernarg_preload_offset 0
		.amdhsa_user_sgpr_private_segment_size 0
		.amdhsa_uses_dynamic_stack 0
		.amdhsa_system_sgpr_private_segment_wavefront_offset 0
		.amdhsa_system_sgpr_workgroup_id_x 1
		.amdhsa_system_sgpr_workgroup_id_y 0
		.amdhsa_system_sgpr_workgroup_id_z 0
		.amdhsa_system_sgpr_workgroup_info 0
		.amdhsa_system_vgpr_workitem_id 0
		.amdhsa_next_free_vgpr 4
		.amdhsa_next_free_sgpr 8
		.amdhsa_accum_offset 4
		.amdhsa_reserve_vcc 1
		.amdhsa_reserve_flat_scratch 0
		.amdhsa_float_round_mode_32 0
		.amdhsa_float_round_mode_16_64 0
		.amdhsa_float_denorm_mode_32 3
		.amdhsa_float_denorm_mode_16_64 3
		.amdhsa_dx10_clamp 1
		.amdhsa_ieee_mode 1
		.amdhsa_fp16_overflow 0
		.amdhsa_tg_split 0
		.amdhsa_exception_fp_ieee_invalid_op 0
		.amdhsa_exception_fp_denorm_src 0
		.amdhsa_exception_fp_ieee_div_zero 0
		.amdhsa_exception_fp_ieee_overflow 0
		.amdhsa_exception_fp_ieee_underflow 0
		.amdhsa_exception_fp_ieee_inexact 0
		.amdhsa_exception_int_div_zero 0
	.end_amdhsa_kernel
	.section	.text._Z6kernelI14subtract_rightLj256ELj1ELb1EJPaS1_jEEvDpT3_,"axG",@progbits,_Z6kernelI14subtract_rightLj256ELj1ELb1EJPaS1_jEEvDpT3_,comdat
.Lfunc_end102:
	.size	_Z6kernelI14subtract_rightLj256ELj1ELb1EJPaS1_jEEvDpT3_, .Lfunc_end102-_Z6kernelI14subtract_rightLj256ELj1ELb1EJPaS1_jEEvDpT3_
                                        ; -- End function
	.section	.AMDGPU.csdata,"",@progbits
; Kernel info:
; codeLenInByte = 176
; NumSgprs: 12
; NumVgprs: 4
; NumAgprs: 0
; TotalNumVgprs: 4
; ScratchSize: 0
; MemoryBound: 0
; FloatMode: 240
; IeeeMode: 1
; LDSByteSize: 512 bytes/workgroup (compile time only)
; SGPRBlocks: 1
; VGPRBlocks: 0
; NumSGPRsForWavesPerEU: 12
; NumVGPRsForWavesPerEU: 4
; AccumOffset: 4
; Occupancy: 8
; WaveLimiterHint : 0
; COMPUTE_PGM_RSRC2:SCRATCH_EN: 0
; COMPUTE_PGM_RSRC2:USER_SGPR: 6
; COMPUTE_PGM_RSRC2:TRAP_HANDLER: 0
; COMPUTE_PGM_RSRC2:TGID_X_EN: 1
; COMPUTE_PGM_RSRC2:TGID_Y_EN: 0
; COMPUTE_PGM_RSRC2:TGID_Z_EN: 0
; COMPUTE_PGM_RSRC2:TIDIG_COMP_CNT: 0
; COMPUTE_PGM_RSRC3_GFX90A:ACCUM_OFFSET: 0
; COMPUTE_PGM_RSRC3_GFX90A:TG_SPLIT: 0
	.section	.text._Z6kernelI14subtract_rightLj256ELj3ELb1EJPaS1_jEEvDpT3_,"axG",@progbits,_Z6kernelI14subtract_rightLj256ELj3ELb1EJPaS1_jEEvDpT3_,comdat
	.protected	_Z6kernelI14subtract_rightLj256ELj3ELb1EJPaS1_jEEvDpT3_ ; -- Begin function _Z6kernelI14subtract_rightLj256ELj3ELb1EJPaS1_jEEvDpT3_
	.globl	_Z6kernelI14subtract_rightLj256ELj3ELb1EJPaS1_jEEvDpT3_
	.p2align	8
	.type	_Z6kernelI14subtract_rightLj256ELj3ELb1EJPaS1_jEEvDpT3_,@function
_Z6kernelI14subtract_rightLj256ELj3ELb1EJPaS1_jEEvDpT3_: ; @_Z6kernelI14subtract_rightLj256ELj3ELb1EJPaS1_jEEvDpT3_
; %bb.0:
	s_load_dwordx4 s[0:3], s[4:5], 0x0
	s_load_dword s7, s[4:5], 0x10
	s_mul_i32 s4, s6, 0x300
	s_waitcnt lgkmcnt(0)
	s_add_u32 s0, s0, s4
	s_addc_u32 s1, s1, 0
	global_load_ubyte v1, v0, s[0:1] offset:256
	global_load_ubyte v2, v0, s[0:1]
	global_load_ubyte v3, v0, s[0:1] offset:512
	s_cmp_eq_u32 s7, 0
	s_waitcnt vmcnt(2)
	v_lshlrev_b16_e32 v1, 8, v1
	s_waitcnt vmcnt(1)
	v_or_b32_e32 v1, v2, v1
	v_and_b32_e32 v1, 0xffff, v1
	s_waitcnt vmcnt(0)
	v_lshl_or_b32 v1, v3, 16, v1
	s_cbranch_scc1 .LBB103_5
; %bb.1:
	s_movk_i32 s0, 0xff
	v_cmp_ne_u32_e32 vcc, s0, v0
	v_mov_b32_e32 v2, 1
	s_branch .LBB103_3
.LBB103_2:                              ;   in Loop: Header=BB103_3 Depth=1
	s_or_b64 exec, exec, s[0:1]
	v_lshrrev_b32_e32 v4, 8, v1
	v_lshlrev_b16_e32 v5, 1, v1
	v_sub_u16_e32 v5, v5, v4
	v_lshlrev_b16_e32 v4, 1, v4
	v_sub_u16_sdwa v4, v4, v1 dst_sel:BYTE_1 dst_unused:UNUSED_PAD src0_sel:DWORD src1_sel:WORD_1
	v_lshlrev_b16_sdwa v1, v2, v1 dst_sel:DWORD dst_unused:UNUSED_PAD src0_sel:DWORD src1_sel:WORD_1
	s_waitcnt lgkmcnt(0)
	v_sub_u16_e32 v1, v1, v3
	v_and_b32_e32 v1, 0xff, v1
	v_or_b32_sdwa v3, v5, v4 dst_sel:DWORD dst_unused:UNUSED_PAD src0_sel:BYTE_0 src1_sel:DWORD
	v_lshlrev_b32_e32 v1, 16, v1
	s_add_i32 s7, s7, -1
	v_or_b32_sdwa v1, v3, v1 dst_sel:DWORD dst_unused:UNUSED_PAD src0_sel:WORD_0 src1_sel:DWORD
	s_cmp_lg_u32 s7, 0
	s_barrier
	s_cbranch_scc0 .LBB103_5
.LBB103_3:                              ; =>This Inner Loop Header: Depth=1
	v_mov_b32_e32 v3, 0x7b
	ds_write_b8 v0, v1 offset:256
	s_waitcnt lgkmcnt(0)
	s_barrier
	s_and_saveexec_b64 s[0:1], vcc
	s_cbranch_execz .LBB103_2
; %bb.4:                                ;   in Loop: Header=BB103_3 Depth=1
	ds_read_u8 v3, v0 offset:257
	s_branch .LBB103_2
.LBB103_5:
	s_add_u32 s0, s2, s4
	s_addc_u32 s1, s3, 0
	v_mov_b32_e32 v3, s1
	v_add_co_u32_e32 v2, vcc, s0, v0
	v_addc_co_u32_e32 v3, vcc, 0, v3, vcc
	v_lshrrev_b32_e32 v0, 8, v1
	global_store_byte v[2:3], v1, off
	global_store_byte v[2:3], v0, off offset:256
	global_store_byte_d16_hi v[2:3], v1, off offset:512
	s_endpgm
	.section	.rodata,"a",@progbits
	.p2align	6, 0x0
	.amdhsa_kernel _Z6kernelI14subtract_rightLj256ELj3ELb1EJPaS1_jEEvDpT3_
		.amdhsa_group_segment_fixed_size 512
		.amdhsa_private_segment_fixed_size 0
		.amdhsa_kernarg_size 20
		.amdhsa_user_sgpr_count 6
		.amdhsa_user_sgpr_private_segment_buffer 1
		.amdhsa_user_sgpr_dispatch_ptr 0
		.amdhsa_user_sgpr_queue_ptr 0
		.amdhsa_user_sgpr_kernarg_segment_ptr 1
		.amdhsa_user_sgpr_dispatch_id 0
		.amdhsa_user_sgpr_flat_scratch_init 0
		.amdhsa_user_sgpr_kernarg_preload_length 0
		.amdhsa_user_sgpr_kernarg_preload_offset 0
		.amdhsa_user_sgpr_private_segment_size 0
		.amdhsa_uses_dynamic_stack 0
		.amdhsa_system_sgpr_private_segment_wavefront_offset 0
		.amdhsa_system_sgpr_workgroup_id_x 1
		.amdhsa_system_sgpr_workgroup_id_y 0
		.amdhsa_system_sgpr_workgroup_id_z 0
		.amdhsa_system_sgpr_workgroup_info 0
		.amdhsa_system_vgpr_workitem_id 0
		.amdhsa_next_free_vgpr 6
		.amdhsa_next_free_sgpr 8
		.amdhsa_accum_offset 8
		.amdhsa_reserve_vcc 1
		.amdhsa_reserve_flat_scratch 0
		.amdhsa_float_round_mode_32 0
		.amdhsa_float_round_mode_16_64 0
		.amdhsa_float_denorm_mode_32 3
		.amdhsa_float_denorm_mode_16_64 3
		.amdhsa_dx10_clamp 1
		.amdhsa_ieee_mode 1
		.amdhsa_fp16_overflow 0
		.amdhsa_tg_split 0
		.amdhsa_exception_fp_ieee_invalid_op 0
		.amdhsa_exception_fp_denorm_src 0
		.amdhsa_exception_fp_ieee_div_zero 0
		.amdhsa_exception_fp_ieee_overflow 0
		.amdhsa_exception_fp_ieee_underflow 0
		.amdhsa_exception_fp_ieee_inexact 0
		.amdhsa_exception_int_div_zero 0
	.end_amdhsa_kernel
	.section	.text._Z6kernelI14subtract_rightLj256ELj3ELb1EJPaS1_jEEvDpT3_,"axG",@progbits,_Z6kernelI14subtract_rightLj256ELj3ELb1EJPaS1_jEEvDpT3_,comdat
.Lfunc_end103:
	.size	_Z6kernelI14subtract_rightLj256ELj3ELb1EJPaS1_jEEvDpT3_, .Lfunc_end103-_Z6kernelI14subtract_rightLj256ELj3ELb1EJPaS1_jEEvDpT3_
                                        ; -- End function
	.section	.AMDGPU.csdata,"",@progbits
; Kernel info:
; codeLenInByte = 304
; NumSgprs: 12
; NumVgprs: 6
; NumAgprs: 0
; TotalNumVgprs: 6
; ScratchSize: 0
; MemoryBound: 0
; FloatMode: 240
; IeeeMode: 1
; LDSByteSize: 512 bytes/workgroup (compile time only)
; SGPRBlocks: 1
; VGPRBlocks: 0
; NumSGPRsForWavesPerEU: 12
; NumVGPRsForWavesPerEU: 6
; AccumOffset: 8
; Occupancy: 8
; WaveLimiterHint : 1
; COMPUTE_PGM_RSRC2:SCRATCH_EN: 0
; COMPUTE_PGM_RSRC2:USER_SGPR: 6
; COMPUTE_PGM_RSRC2:TRAP_HANDLER: 0
; COMPUTE_PGM_RSRC2:TGID_X_EN: 1
; COMPUTE_PGM_RSRC2:TGID_Y_EN: 0
; COMPUTE_PGM_RSRC2:TGID_Z_EN: 0
; COMPUTE_PGM_RSRC2:TIDIG_COMP_CNT: 0
; COMPUTE_PGM_RSRC3_GFX90A:ACCUM_OFFSET: 1
; COMPUTE_PGM_RSRC3_GFX90A:TG_SPLIT: 0
	.section	.text._Z6kernelI14subtract_rightLj256ELj4ELb1EJPaS1_jEEvDpT3_,"axG",@progbits,_Z6kernelI14subtract_rightLj256ELj4ELb1EJPaS1_jEEvDpT3_,comdat
	.protected	_Z6kernelI14subtract_rightLj256ELj4ELb1EJPaS1_jEEvDpT3_ ; -- Begin function _Z6kernelI14subtract_rightLj256ELj4ELb1EJPaS1_jEEvDpT3_
	.globl	_Z6kernelI14subtract_rightLj256ELj4ELb1EJPaS1_jEEvDpT3_
	.p2align	8
	.type	_Z6kernelI14subtract_rightLj256ELj4ELb1EJPaS1_jEEvDpT3_,@function
_Z6kernelI14subtract_rightLj256ELj4ELb1EJPaS1_jEEvDpT3_: ; @_Z6kernelI14subtract_rightLj256ELj4ELb1EJPaS1_jEEvDpT3_
; %bb.0:
	s_load_dwordx4 s[0:3], s[4:5], 0x0
	s_load_dword s7, s[4:5], 0x10
	s_lshl_b32 s4, s6, 10
	s_waitcnt lgkmcnt(0)
	s_add_u32 s0, s0, s4
	s_addc_u32 s1, s1, 0
	global_load_ubyte v1, v0, s[0:1] offset:256
	global_load_ubyte v2, v0, s[0:1] offset:768
	global_load_ubyte v3, v0, s[0:1]
	global_load_ubyte v4, v0, s[0:1] offset:512
	s_cmp_eq_u32 s7, 0
	s_waitcnt vmcnt(3)
	v_lshlrev_b16_e32 v1, 8, v1
	s_waitcnt vmcnt(2)
	v_lshlrev_b16_e32 v2, 8, v2
	s_waitcnt vmcnt(1)
	v_or_b32_e32 v1, v3, v1
	s_waitcnt vmcnt(0)
	v_or_b32_sdwa v2, v4, v2 dst_sel:WORD_1 dst_unused:UNUSED_PAD src0_sel:DWORD src1_sel:DWORD
	v_or_b32_sdwa v1, v1, v2 dst_sel:DWORD dst_unused:UNUSED_PAD src0_sel:WORD_0 src1_sel:DWORD
	s_cbranch_scc1 .LBB104_5
; %bb.1:
	s_movk_i32 s0, 0xff
	v_cmp_ne_u32_e32 vcc, s0, v0
	v_mov_b32_e32 v2, 1
	s_branch .LBB104_3
.LBB104_2:                              ;   in Loop: Header=BB104_3 Depth=1
	s_or_b64 exec, exec, s[0:1]
	v_lshrrev_b32_e32 v4, 8, v1
	v_lshlrev_b16_e32 v5, 1, v1
	v_sub_u16_e32 v5, v5, v4
	v_lshlrev_b16_e32 v4, 1, v4
	v_lshlrev_b16_sdwa v6, v2, v1 dst_sel:DWORD dst_unused:UNUSED_PAD src0_sel:DWORD src1_sel:WORD_1
	v_sub_u16_sdwa v4, v4, v1 dst_sel:BYTE_1 dst_unused:UNUSED_PAD src0_sel:DWORD src1_sel:WORD_1
	v_sub_u16_sdwa v6, v6, v1 dst_sel:DWORD dst_unused:UNUSED_PAD src0_sel:DWORD src1_sel:BYTE_3
	v_lshlrev_b16_sdwa v1, v2, v1 dst_sel:DWORD dst_unused:UNUSED_PAD src0_sel:DWORD src1_sel:BYTE_3
	s_waitcnt lgkmcnt(0)
	v_sub_u16_sdwa v1, v1, v3 dst_sel:BYTE_1 dst_unused:UNUSED_PAD src0_sel:DWORD src1_sel:DWORD
	v_or_b32_sdwa v3, v5, v4 dst_sel:DWORD dst_unused:UNUSED_PAD src0_sel:BYTE_0 src1_sel:DWORD
	v_or_b32_sdwa v1, v6, v1 dst_sel:WORD_1 dst_unused:UNUSED_PAD src0_sel:BYTE_0 src1_sel:DWORD
	s_add_i32 s7, s7, -1
	v_or_b32_sdwa v1, v3, v1 dst_sel:DWORD dst_unused:UNUSED_PAD src0_sel:WORD_0 src1_sel:DWORD
	s_cmp_lg_u32 s7, 0
	s_barrier
	s_cbranch_scc0 .LBB104_5
.LBB104_3:                              ; =>This Inner Loop Header: Depth=1
	v_mov_b32_e32 v3, 0x7b
	ds_write_b8 v0, v1 offset:256
	s_waitcnt lgkmcnt(0)
	s_barrier
	s_and_saveexec_b64 s[0:1], vcc
	s_cbranch_execz .LBB104_2
; %bb.4:                                ;   in Loop: Header=BB104_3 Depth=1
	ds_read_u8 v3, v0 offset:257
	s_branch .LBB104_2
.LBB104_5:
	s_add_u32 s0, s2, s4
	s_addc_u32 s1, s3, 0
	v_mov_b32_e32 v3, s1
	v_add_co_u32_e32 v2, vcc, s0, v0
	v_addc_co_u32_e32 v3, vcc, 0, v3, vcc
	v_lshrrev_b32_e32 v0, 8, v1
	global_store_byte v[2:3], v1, off
	global_store_byte v[2:3], v0, off offset:256
	global_store_byte_d16_hi v[2:3], v1, off offset:512
	v_lshrrev_b32_e32 v0, 24, v1
	global_store_byte v[2:3], v0, off offset:768
	s_endpgm
	.section	.rodata,"a",@progbits
	.p2align	6, 0x0
	.amdhsa_kernel _Z6kernelI14subtract_rightLj256ELj4ELb1EJPaS1_jEEvDpT3_
		.amdhsa_group_segment_fixed_size 512
		.amdhsa_private_segment_fixed_size 0
		.amdhsa_kernarg_size 20
		.amdhsa_user_sgpr_count 6
		.amdhsa_user_sgpr_private_segment_buffer 1
		.amdhsa_user_sgpr_dispatch_ptr 0
		.amdhsa_user_sgpr_queue_ptr 0
		.amdhsa_user_sgpr_kernarg_segment_ptr 1
		.amdhsa_user_sgpr_dispatch_id 0
		.amdhsa_user_sgpr_flat_scratch_init 0
		.amdhsa_user_sgpr_kernarg_preload_length 0
		.amdhsa_user_sgpr_kernarg_preload_offset 0
		.amdhsa_user_sgpr_private_segment_size 0
		.amdhsa_uses_dynamic_stack 0
		.amdhsa_system_sgpr_private_segment_wavefront_offset 0
		.amdhsa_system_sgpr_workgroup_id_x 1
		.amdhsa_system_sgpr_workgroup_id_y 0
		.amdhsa_system_sgpr_workgroup_id_z 0
		.amdhsa_system_sgpr_workgroup_info 0
		.amdhsa_system_vgpr_workitem_id 0
		.amdhsa_next_free_vgpr 7
		.amdhsa_next_free_sgpr 8
		.amdhsa_accum_offset 8
		.amdhsa_reserve_vcc 1
		.amdhsa_reserve_flat_scratch 0
		.amdhsa_float_round_mode_32 0
		.amdhsa_float_round_mode_16_64 0
		.amdhsa_float_denorm_mode_32 3
		.amdhsa_float_denorm_mode_16_64 3
		.amdhsa_dx10_clamp 1
		.amdhsa_ieee_mode 1
		.amdhsa_fp16_overflow 0
		.amdhsa_tg_split 0
		.amdhsa_exception_fp_ieee_invalid_op 0
		.amdhsa_exception_fp_denorm_src 0
		.amdhsa_exception_fp_ieee_div_zero 0
		.amdhsa_exception_fp_ieee_overflow 0
		.amdhsa_exception_fp_ieee_underflow 0
		.amdhsa_exception_fp_ieee_inexact 0
		.amdhsa_exception_int_div_zero 0
	.end_amdhsa_kernel
	.section	.text._Z6kernelI14subtract_rightLj256ELj4ELb1EJPaS1_jEEvDpT3_,"axG",@progbits,_Z6kernelI14subtract_rightLj256ELj4ELb1EJPaS1_jEEvDpT3_,comdat
.Lfunc_end104:
	.size	_Z6kernelI14subtract_rightLj256ELj4ELb1EJPaS1_jEEvDpT3_, .Lfunc_end104-_Z6kernelI14subtract_rightLj256ELj4ELb1EJPaS1_jEEvDpT3_
                                        ; -- End function
	.section	.AMDGPU.csdata,"",@progbits
; Kernel info:
; codeLenInByte = 344
; NumSgprs: 12
; NumVgprs: 7
; NumAgprs: 0
; TotalNumVgprs: 7
; ScratchSize: 0
; MemoryBound: 0
; FloatMode: 240
; IeeeMode: 1
; LDSByteSize: 512 bytes/workgroup (compile time only)
; SGPRBlocks: 1
; VGPRBlocks: 0
; NumSGPRsForWavesPerEU: 12
; NumVGPRsForWavesPerEU: 7
; AccumOffset: 8
; Occupancy: 8
; WaveLimiterHint : 1
; COMPUTE_PGM_RSRC2:SCRATCH_EN: 0
; COMPUTE_PGM_RSRC2:USER_SGPR: 6
; COMPUTE_PGM_RSRC2:TRAP_HANDLER: 0
; COMPUTE_PGM_RSRC2:TGID_X_EN: 1
; COMPUTE_PGM_RSRC2:TGID_Y_EN: 0
; COMPUTE_PGM_RSRC2:TGID_Z_EN: 0
; COMPUTE_PGM_RSRC2:TIDIG_COMP_CNT: 0
; COMPUTE_PGM_RSRC3_GFX90A:ACCUM_OFFSET: 1
; COMPUTE_PGM_RSRC3_GFX90A:TG_SPLIT: 0
	.section	.text._Z6kernelI14subtract_rightLj256ELj8ELb1EJPaS1_jEEvDpT3_,"axG",@progbits,_Z6kernelI14subtract_rightLj256ELj8ELb1EJPaS1_jEEvDpT3_,comdat
	.protected	_Z6kernelI14subtract_rightLj256ELj8ELb1EJPaS1_jEEvDpT3_ ; -- Begin function _Z6kernelI14subtract_rightLj256ELj8ELb1EJPaS1_jEEvDpT3_
	.globl	_Z6kernelI14subtract_rightLj256ELj8ELb1EJPaS1_jEEvDpT3_
	.p2align	8
	.type	_Z6kernelI14subtract_rightLj256ELj8ELb1EJPaS1_jEEvDpT3_,@function
_Z6kernelI14subtract_rightLj256ELj8ELb1EJPaS1_jEEvDpT3_: ; @_Z6kernelI14subtract_rightLj256ELj8ELb1EJPaS1_jEEvDpT3_
; %bb.0:
	s_load_dwordx4 s[0:3], s[4:5], 0x0
	s_load_dword s7, s[4:5], 0x10
	s_lshl_b32 s4, s6, 11
	s_waitcnt lgkmcnt(0)
	s_add_u32 s0, s0, s4
	s_addc_u32 s1, s1, 0
	global_load_ubyte v1, v0, s[0:1] offset:256
	global_load_ubyte v2, v0, s[0:1] offset:768
	;; [unrolled: 1-line block ×4, first 2 shown]
	global_load_ubyte v5, v0, s[0:1]
	global_load_ubyte v6, v0, s[0:1] offset:512
	global_load_ubyte v7, v0, s[0:1] offset:1024
	;; [unrolled: 1-line block ×3, first 2 shown]
	s_cmp_eq_u32 s7, 0
	s_waitcnt vmcnt(7)
	v_lshlrev_b16_e32 v1, 8, v1
	s_waitcnt vmcnt(6)
	v_lshlrev_b16_e32 v2, 8, v2
	;; [unrolled: 2-line block ×4, first 2 shown]
	s_waitcnt vmcnt(3)
	v_or_b32_e32 v1, v5, v1
	s_waitcnt vmcnt(2)
	v_or_b32_sdwa v2, v6, v2 dst_sel:WORD_1 dst_unused:UNUSED_PAD src0_sel:DWORD src1_sel:DWORD
	s_waitcnt vmcnt(1)
	v_or_b32_e32 v3, v7, v3
	s_waitcnt vmcnt(0)
	v_or_b32_sdwa v4, v8, v4 dst_sel:WORD_1 dst_unused:UNUSED_PAD src0_sel:DWORD src1_sel:DWORD
	v_or_b32_sdwa v2, v1, v2 dst_sel:DWORD dst_unused:UNUSED_PAD src0_sel:WORD_0 src1_sel:DWORD
	v_or_b32_sdwa v3, v3, v4 dst_sel:DWORD dst_unused:UNUSED_PAD src0_sel:WORD_0 src1_sel:DWORD
	s_cbranch_scc1 .LBB105_5
; %bb.1:
	s_movk_i32 s0, 0xff
	v_cmp_ne_u32_e32 vcc, s0, v0
	v_mov_b32_e32 v1, 1
	s_branch .LBB105_3
.LBB105_2:                              ;   in Loop: Header=BB105_3 Depth=1
	s_or_b64 exec, exec, s[0:1]
	v_lshrrev_b32_e32 v5, 8, v2
	v_lshlrev_b16_e32 v8, 1, v2
	v_lshrrev_b64 v[6:7], 24, v[2:3]
	v_sub_u16_e32 v8, v8, v5
	v_lshlrev_b16_e32 v5, 1, v5
	v_lshrrev_b32_e32 v7, 8, v3
	v_sub_u16_sdwa v5, v5, v2 dst_sel:BYTE_1 dst_unused:UNUSED_PAD src0_sel:DWORD src1_sel:WORD_1
	v_lshlrev_b16_sdwa v2, v1, v2 dst_sel:DWORD dst_unused:UNUSED_PAD src0_sel:DWORD src1_sel:WORD_1
	v_lshlrev_b16_e32 v9, 1, v3
	v_sub_u16_e32 v2, v2, v6
	v_lshlrev_b16_e32 v6, 1, v6
	v_sub_u16_e32 v9, v9, v7
	v_lshlrev_b16_e32 v7, 1, v7
	v_lshlrev_b16_sdwa v10, v1, v3 dst_sel:DWORD dst_unused:UNUSED_PAD src0_sel:DWORD src1_sel:WORD_1
	v_sub_u16_sdwa v6, v6, v3 dst_sel:BYTE_1 dst_unused:UNUSED_PAD src0_sel:DWORD src1_sel:DWORD
	v_sub_u16_sdwa v7, v7, v3 dst_sel:BYTE_1 dst_unused:UNUSED_PAD src0_sel:DWORD src1_sel:WORD_1
	v_sub_u16_sdwa v10, v10, v3 dst_sel:DWORD dst_unused:UNUSED_PAD src0_sel:DWORD src1_sel:BYTE_3
	v_lshlrev_b16_sdwa v3, v1, v3 dst_sel:DWORD dst_unused:UNUSED_PAD src0_sel:DWORD src1_sel:BYTE_3
	s_waitcnt lgkmcnt(0)
	v_sub_u16_sdwa v3, v3, v4 dst_sel:BYTE_1 dst_unused:UNUSED_PAD src0_sel:DWORD src1_sel:DWORD
	v_or_b32_sdwa v4, v8, v5 dst_sel:DWORD dst_unused:UNUSED_PAD src0_sel:BYTE_0 src1_sel:DWORD
	v_or_b32_sdwa v2, v2, v6 dst_sel:WORD_1 dst_unused:UNUSED_PAD src0_sel:BYTE_0 src1_sel:DWORD
	v_or_b32_sdwa v2, v4, v2 dst_sel:DWORD dst_unused:UNUSED_PAD src0_sel:WORD_0 src1_sel:DWORD
	v_or_b32_sdwa v4, v9, v7 dst_sel:DWORD dst_unused:UNUSED_PAD src0_sel:BYTE_0 src1_sel:DWORD
	v_or_b32_sdwa v3, v10, v3 dst_sel:WORD_1 dst_unused:UNUSED_PAD src0_sel:BYTE_0 src1_sel:DWORD
	s_add_i32 s7, s7, -1
	s_cmp_lg_u32 s7, 0
	v_or_b32_sdwa v3, v4, v3 dst_sel:DWORD dst_unused:UNUSED_PAD src0_sel:WORD_0 src1_sel:DWORD
	s_barrier
	s_cbranch_scc0 .LBB105_5
.LBB105_3:                              ; =>This Inner Loop Header: Depth=1
	v_mov_b32_e32 v4, 0x7b
	ds_write_b8 v0, v2 offset:256
	s_waitcnt lgkmcnt(0)
	s_barrier
	s_and_saveexec_b64 s[0:1], vcc
	s_cbranch_execz .LBB105_2
; %bb.4:                                ;   in Loop: Header=BB105_3 Depth=1
	ds_read_u8 v4, v0 offset:257
	s_branch .LBB105_2
.LBB105_5:
	s_add_u32 s0, s2, s4
	s_addc_u32 s1, s3, 0
	v_mov_b32_e32 v1, s1
	v_add_co_u32_e32 v0, vcc, s0, v0
	v_addc_co_u32_e32 v1, vcc, 0, v1, vcc
	v_lshrrev_b32_e32 v4, 8, v2
	global_store_byte v[0:1], v2, off
	global_store_byte v[0:1], v4, off offset:256
	global_store_byte_d16_hi v[0:1], v2, off offset:512
	v_lshrrev_b32_e32 v2, 24, v2
	global_store_byte v[0:1], v2, off offset:768
	global_store_byte v[0:1], v3, off offset:1024
	v_lshrrev_b32_e32 v2, 8, v3
	global_store_byte v[0:1], v2, off offset:1280
	global_store_byte_d16_hi v[0:1], v3, off offset:1536
	v_lshrrev_b32_e32 v2, 24, v3
	global_store_byte v[0:1], v2, off offset:1792
	s_endpgm
	.section	.rodata,"a",@progbits
	.p2align	6, 0x0
	.amdhsa_kernel _Z6kernelI14subtract_rightLj256ELj8ELb1EJPaS1_jEEvDpT3_
		.amdhsa_group_segment_fixed_size 512
		.amdhsa_private_segment_fixed_size 0
		.amdhsa_kernarg_size 20
		.amdhsa_user_sgpr_count 6
		.amdhsa_user_sgpr_private_segment_buffer 1
		.amdhsa_user_sgpr_dispatch_ptr 0
		.amdhsa_user_sgpr_queue_ptr 0
		.amdhsa_user_sgpr_kernarg_segment_ptr 1
		.amdhsa_user_sgpr_dispatch_id 0
		.amdhsa_user_sgpr_flat_scratch_init 0
		.amdhsa_user_sgpr_kernarg_preload_length 0
		.amdhsa_user_sgpr_kernarg_preload_offset 0
		.amdhsa_user_sgpr_private_segment_size 0
		.amdhsa_uses_dynamic_stack 0
		.amdhsa_system_sgpr_private_segment_wavefront_offset 0
		.amdhsa_system_sgpr_workgroup_id_x 1
		.amdhsa_system_sgpr_workgroup_id_y 0
		.amdhsa_system_sgpr_workgroup_id_z 0
		.amdhsa_system_sgpr_workgroup_info 0
		.amdhsa_system_vgpr_workitem_id 0
		.amdhsa_next_free_vgpr 11
		.amdhsa_next_free_sgpr 8
		.amdhsa_accum_offset 12
		.amdhsa_reserve_vcc 1
		.amdhsa_reserve_flat_scratch 0
		.amdhsa_float_round_mode_32 0
		.amdhsa_float_round_mode_16_64 0
		.amdhsa_float_denorm_mode_32 3
		.amdhsa_float_denorm_mode_16_64 3
		.amdhsa_dx10_clamp 1
		.amdhsa_ieee_mode 1
		.amdhsa_fp16_overflow 0
		.amdhsa_tg_split 0
		.amdhsa_exception_fp_ieee_invalid_op 0
		.amdhsa_exception_fp_denorm_src 0
		.amdhsa_exception_fp_ieee_div_zero 0
		.amdhsa_exception_fp_ieee_overflow 0
		.amdhsa_exception_fp_ieee_underflow 0
		.amdhsa_exception_fp_ieee_inexact 0
		.amdhsa_exception_int_div_zero 0
	.end_amdhsa_kernel
	.section	.text._Z6kernelI14subtract_rightLj256ELj8ELb1EJPaS1_jEEvDpT3_,"axG",@progbits,_Z6kernelI14subtract_rightLj256ELj8ELb1EJPaS1_jEEvDpT3_,comdat
.Lfunc_end105:
	.size	_Z6kernelI14subtract_rightLj256ELj8ELb1EJPaS1_jEEvDpT3_, .Lfunc_end105-_Z6kernelI14subtract_rightLj256ELj8ELb1EJPaS1_jEEvDpT3_
                                        ; -- End function
	.section	.AMDGPU.csdata,"",@progbits
; Kernel info:
; codeLenInByte = 540
; NumSgprs: 12
; NumVgprs: 11
; NumAgprs: 0
; TotalNumVgprs: 11
; ScratchSize: 0
; MemoryBound: 0
; FloatMode: 240
; IeeeMode: 1
; LDSByteSize: 512 bytes/workgroup (compile time only)
; SGPRBlocks: 1
; VGPRBlocks: 1
; NumSGPRsForWavesPerEU: 12
; NumVGPRsForWavesPerEU: 11
; AccumOffset: 12
; Occupancy: 8
; WaveLimiterHint : 1
; COMPUTE_PGM_RSRC2:SCRATCH_EN: 0
; COMPUTE_PGM_RSRC2:USER_SGPR: 6
; COMPUTE_PGM_RSRC2:TRAP_HANDLER: 0
; COMPUTE_PGM_RSRC2:TGID_X_EN: 1
; COMPUTE_PGM_RSRC2:TGID_Y_EN: 0
; COMPUTE_PGM_RSRC2:TGID_Z_EN: 0
; COMPUTE_PGM_RSRC2:TIDIG_COMP_CNT: 0
; COMPUTE_PGM_RSRC3_GFX90A:ACCUM_OFFSET: 2
; COMPUTE_PGM_RSRC3_GFX90A:TG_SPLIT: 0
	.section	.text._Z6kernelI14subtract_rightLj256ELj16ELb1EJPaS1_jEEvDpT3_,"axG",@progbits,_Z6kernelI14subtract_rightLj256ELj16ELb1EJPaS1_jEEvDpT3_,comdat
	.protected	_Z6kernelI14subtract_rightLj256ELj16ELb1EJPaS1_jEEvDpT3_ ; -- Begin function _Z6kernelI14subtract_rightLj256ELj16ELb1EJPaS1_jEEvDpT3_
	.globl	_Z6kernelI14subtract_rightLj256ELj16ELb1EJPaS1_jEEvDpT3_
	.p2align	8
	.type	_Z6kernelI14subtract_rightLj256ELj16ELb1EJPaS1_jEEvDpT3_,@function
_Z6kernelI14subtract_rightLj256ELj16ELb1EJPaS1_jEEvDpT3_: ; @_Z6kernelI14subtract_rightLj256ELj16ELb1EJPaS1_jEEvDpT3_
; %bb.0:
	s_load_dwordx4 s[0:3], s[4:5], 0x0
	s_load_dword s7, s[4:5], 0x10
	s_lshl_b32 s4, s6, 12
	s_waitcnt lgkmcnt(0)
	s_add_u32 s0, s0, s4
	s_addc_u32 s1, s1, 0
	global_load_ubyte v1, v0, s[0:1] offset:256
	global_load_ubyte v2, v0, s[0:1] offset:768
	;; [unrolled: 1-line block ×8, first 2 shown]
	global_load_ubyte v9, v0, s[0:1]
	global_load_ubyte v10, v0, s[0:1] offset:512
	global_load_ubyte v11, v0, s[0:1] offset:1024
	;; [unrolled: 1-line block ×7, first 2 shown]
	s_cmp_eq_u32 s7, 0
	s_waitcnt vmcnt(15)
	v_lshlrev_b16_e32 v1, 8, v1
	s_waitcnt vmcnt(14)
	v_lshlrev_b16_e32 v2, 8, v2
	;; [unrolled: 2-line block ×8, first 2 shown]
	s_waitcnt vmcnt(7)
	v_or_b32_e32 v1, v9, v1
	s_waitcnt vmcnt(6)
	v_or_b32_sdwa v2, v10, v2 dst_sel:WORD_1 dst_unused:UNUSED_PAD src0_sel:DWORD src1_sel:DWORD
	s_waitcnt vmcnt(5)
	v_or_b32_e32 v3, v11, v3
	s_waitcnt vmcnt(4)
	v_or_b32_sdwa v9, v12, v4 dst_sel:WORD_1 dst_unused:UNUSED_PAD src0_sel:DWORD src1_sel:DWORD
	;; [unrolled: 4-line block ×4, first 2 shown]
	v_or_b32_sdwa v4, v1, v2 dst_sel:DWORD dst_unused:UNUSED_PAD src0_sel:WORD_0 src1_sel:DWORD
	v_or_b32_sdwa v5, v3, v9 dst_sel:DWORD dst_unused:UNUSED_PAD src0_sel:WORD_0 src1_sel:DWORD
	;; [unrolled: 1-line block ×4, first 2 shown]
	s_cbranch_scc1 .LBB106_5
; %bb.1:
	s_movk_i32 s0, 0xff
	v_cmp_ne_u32_e32 vcc, s0, v0
	v_mov_b32_e32 v1, 1
	s_branch .LBB106_3
.LBB106_2:                              ;   in Loop: Header=BB106_3 Depth=1
	s_or_b64 exec, exec, s[0:1]
	v_lshrrev_b32_e32 v7, 8, v4
	v_lshlrev_b16_e32 v13, 1, v4
	v_lshrrev_b64 v[8:9], 24, v[4:5]
	v_sub_u16_e32 v13, v13, v7
	v_lshlrev_b16_e32 v7, 1, v7
	v_lshrrev_b32_e32 v9, 8, v5
	v_sub_u16_sdwa v7, v7, v4 dst_sel:BYTE_1 dst_unused:UNUSED_PAD src0_sel:DWORD src1_sel:WORD_1
	v_lshlrev_b16_sdwa v4, v1, v4 dst_sel:DWORD dst_unused:UNUSED_PAD src0_sel:DWORD src1_sel:WORD_1
	v_lshlrev_b16_e32 v14, 1, v5
	v_lshrrev_b32_e32 v12, 8, v2
	v_sub_u16_e32 v4, v4, v8
	v_lshlrev_b16_e32 v8, 1, v8
	v_sub_u16_e32 v14, v14, v9
	v_lshlrev_b16_e32 v9, 1, v9
	v_lshlrev_b16_sdwa v15, v1, v5 dst_sel:DWORD dst_unused:UNUSED_PAD src0_sel:DWORD src1_sel:WORD_1
	v_lshlrev_b16_e32 v16, 1, v2
	v_lshrrev_b64 v[10:11], 24, v[2:3]
	v_sub_u16_sdwa v8, v8, v5 dst_sel:BYTE_1 dst_unused:UNUSED_PAD src0_sel:DWORD src1_sel:DWORD
	v_sub_u16_sdwa v9, v9, v5 dst_sel:BYTE_1 dst_unused:UNUSED_PAD src0_sel:DWORD src1_sel:WORD_1
	v_sub_u16_sdwa v15, v15, v5 dst_sel:DWORD dst_unused:UNUSED_PAD src0_sel:DWORD src1_sel:BYTE_3
	v_lshlrev_b16_sdwa v5, v1, v5 dst_sel:DWORD dst_unused:UNUSED_PAD src0_sel:DWORD src1_sel:BYTE_3
	v_sub_u16_e32 v16, v16, v12
	v_lshlrev_b16_e32 v12, 1, v12
	v_lshrrev_b32_e32 v11, 8, v3
	v_sub_u16_sdwa v5, v5, v2 dst_sel:BYTE_1 dst_unused:UNUSED_PAD src0_sel:DWORD src1_sel:DWORD
	v_sub_u16_sdwa v12, v12, v2 dst_sel:BYTE_1 dst_unused:UNUSED_PAD src0_sel:DWORD src1_sel:WORD_1
	v_lshlrev_b16_sdwa v2, v1, v2 dst_sel:DWORD dst_unused:UNUSED_PAD src0_sel:DWORD src1_sel:WORD_1
	v_lshlrev_b16_e32 v17, 1, v3
	v_sub_u16_e32 v2, v2, v10
	v_lshlrev_b16_e32 v10, 1, v10
	v_sub_u16_e32 v17, v17, v11
	v_lshlrev_b16_e32 v11, 1, v11
	v_lshlrev_b16_sdwa v18, v1, v3 dst_sel:DWORD dst_unused:UNUSED_PAD src0_sel:DWORD src1_sel:WORD_1
	v_sub_u16_sdwa v10, v10, v3 dst_sel:BYTE_1 dst_unused:UNUSED_PAD src0_sel:DWORD src1_sel:DWORD
	v_sub_u16_sdwa v11, v11, v3 dst_sel:BYTE_1 dst_unused:UNUSED_PAD src0_sel:DWORD src1_sel:WORD_1
	v_sub_u16_sdwa v18, v18, v3 dst_sel:DWORD dst_unused:UNUSED_PAD src0_sel:DWORD src1_sel:BYTE_3
	v_lshlrev_b16_sdwa v3, v1, v3 dst_sel:DWORD dst_unused:UNUSED_PAD src0_sel:DWORD src1_sel:BYTE_3
	s_waitcnt lgkmcnt(0)
	v_sub_u16_sdwa v3, v3, v6 dst_sel:BYTE_1 dst_unused:UNUSED_PAD src0_sel:DWORD src1_sel:DWORD
	v_or_b32_sdwa v6, v13, v7 dst_sel:DWORD dst_unused:UNUSED_PAD src0_sel:BYTE_0 src1_sel:DWORD
	v_or_b32_sdwa v4, v4, v8 dst_sel:WORD_1 dst_unused:UNUSED_PAD src0_sel:BYTE_0 src1_sel:DWORD
	v_or_b32_sdwa v4, v6, v4 dst_sel:DWORD dst_unused:UNUSED_PAD src0_sel:WORD_0 src1_sel:DWORD
	v_or_b32_sdwa v6, v14, v9 dst_sel:DWORD dst_unused:UNUSED_PAD src0_sel:BYTE_0 src1_sel:DWORD
	v_or_b32_sdwa v5, v15, v5 dst_sel:WORD_1 dst_unused:UNUSED_PAD src0_sel:BYTE_0 src1_sel:DWORD
	v_or_b32_sdwa v5, v6, v5 dst_sel:DWORD dst_unused:UNUSED_PAD src0_sel:WORD_0 src1_sel:DWORD
	;; [unrolled: 3-line block ×3, first 2 shown]
	v_or_b32_sdwa v6, v17, v11 dst_sel:DWORD dst_unused:UNUSED_PAD src0_sel:BYTE_0 src1_sel:DWORD
	v_or_b32_sdwa v3, v18, v3 dst_sel:WORD_1 dst_unused:UNUSED_PAD src0_sel:BYTE_0 src1_sel:DWORD
	s_add_i32 s7, s7, -1
	s_cmp_lg_u32 s7, 0
	v_or_b32_sdwa v3, v6, v3 dst_sel:DWORD dst_unused:UNUSED_PAD src0_sel:WORD_0 src1_sel:DWORD
	s_barrier
	s_cbranch_scc0 .LBB106_5
.LBB106_3:                              ; =>This Inner Loop Header: Depth=1
	v_mov_b32_e32 v6, 0x7b
	ds_write_b8 v0, v4 offset:256
	s_waitcnt lgkmcnt(0)
	s_barrier
	s_and_saveexec_b64 s[0:1], vcc
	s_cbranch_execz .LBB106_2
; %bb.4:                                ;   in Loop: Header=BB106_3 Depth=1
	ds_read_u8 v6, v0 offset:257
	s_branch .LBB106_2
.LBB106_5:
	s_add_u32 s0, s2, s4
	s_addc_u32 s1, s3, 0
	v_mov_b32_e32 v1, s1
	v_add_co_u32_e32 v0, vcc, s0, v0
	v_addc_co_u32_e32 v1, vcc, 0, v1, vcc
	v_lshrrev_b32_e32 v6, 8, v4
	global_store_byte v[0:1], v4, off
	global_store_byte v[0:1], v6, off offset:256
	global_store_byte_d16_hi v[0:1], v4, off offset:512
	v_lshrrev_b32_e32 v4, 24, v4
	global_store_byte v[0:1], v4, off offset:768
	global_store_byte v[0:1], v5, off offset:1024
	v_lshrrev_b32_e32 v4, 8, v5
	global_store_byte v[0:1], v4, off offset:1280
	global_store_byte_d16_hi v[0:1], v5, off offset:1536
	v_lshrrev_b32_e32 v4, 24, v5
	global_store_byte v[0:1], v4, off offset:1792
	global_store_byte v[0:1], v2, off offset:2048
	v_lshrrev_b32_e32 v4, 8, v2
	;; [unrolled: 6-line block ×3, first 2 shown]
	global_store_byte v[0:1], v2, off offset:3328
	global_store_byte_d16_hi v[0:1], v3, off offset:3584
	v_lshrrev_b32_e32 v2, 24, v3
	global_store_byte v[0:1], v2, off offset:3840
	s_endpgm
	.section	.rodata,"a",@progbits
	.p2align	6, 0x0
	.amdhsa_kernel _Z6kernelI14subtract_rightLj256ELj16ELb1EJPaS1_jEEvDpT3_
		.amdhsa_group_segment_fixed_size 512
		.amdhsa_private_segment_fixed_size 0
		.amdhsa_kernarg_size 20
		.amdhsa_user_sgpr_count 6
		.amdhsa_user_sgpr_private_segment_buffer 1
		.amdhsa_user_sgpr_dispatch_ptr 0
		.amdhsa_user_sgpr_queue_ptr 0
		.amdhsa_user_sgpr_kernarg_segment_ptr 1
		.amdhsa_user_sgpr_dispatch_id 0
		.amdhsa_user_sgpr_flat_scratch_init 0
		.amdhsa_user_sgpr_kernarg_preload_length 0
		.amdhsa_user_sgpr_kernarg_preload_offset 0
		.amdhsa_user_sgpr_private_segment_size 0
		.amdhsa_uses_dynamic_stack 0
		.amdhsa_system_sgpr_private_segment_wavefront_offset 0
		.amdhsa_system_sgpr_workgroup_id_x 1
		.amdhsa_system_sgpr_workgroup_id_y 0
		.amdhsa_system_sgpr_workgroup_id_z 0
		.amdhsa_system_sgpr_workgroup_info 0
		.amdhsa_system_vgpr_workitem_id 0
		.amdhsa_next_free_vgpr 19
		.amdhsa_next_free_sgpr 8
		.amdhsa_accum_offset 20
		.amdhsa_reserve_vcc 1
		.amdhsa_reserve_flat_scratch 0
		.amdhsa_float_round_mode_32 0
		.amdhsa_float_round_mode_16_64 0
		.amdhsa_float_denorm_mode_32 3
		.amdhsa_float_denorm_mode_16_64 3
		.amdhsa_dx10_clamp 1
		.amdhsa_ieee_mode 1
		.amdhsa_fp16_overflow 0
		.amdhsa_tg_split 0
		.amdhsa_exception_fp_ieee_invalid_op 0
		.amdhsa_exception_fp_denorm_src 0
		.amdhsa_exception_fp_ieee_div_zero 0
		.amdhsa_exception_fp_ieee_overflow 0
		.amdhsa_exception_fp_ieee_underflow 0
		.amdhsa_exception_fp_ieee_inexact 0
		.amdhsa_exception_int_div_zero 0
	.end_amdhsa_kernel
	.section	.text._Z6kernelI14subtract_rightLj256ELj16ELb1EJPaS1_jEEvDpT3_,"axG",@progbits,_Z6kernelI14subtract_rightLj256ELj16ELb1EJPaS1_jEEvDpT3_,comdat
.Lfunc_end106:
	.size	_Z6kernelI14subtract_rightLj256ELj16ELb1EJPaS1_jEEvDpT3_, .Lfunc_end106-_Z6kernelI14subtract_rightLj256ELj16ELb1EJPaS1_jEEvDpT3_
                                        ; -- End function
	.section	.AMDGPU.csdata,"",@progbits
; Kernel info:
; codeLenInByte = 932
; NumSgprs: 12
; NumVgprs: 19
; NumAgprs: 0
; TotalNumVgprs: 19
; ScratchSize: 0
; MemoryBound: 0
; FloatMode: 240
; IeeeMode: 1
; LDSByteSize: 512 bytes/workgroup (compile time only)
; SGPRBlocks: 1
; VGPRBlocks: 2
; NumSGPRsForWavesPerEU: 12
; NumVGPRsForWavesPerEU: 19
; AccumOffset: 20
; Occupancy: 8
; WaveLimiterHint : 1
; COMPUTE_PGM_RSRC2:SCRATCH_EN: 0
; COMPUTE_PGM_RSRC2:USER_SGPR: 6
; COMPUTE_PGM_RSRC2:TRAP_HANDLER: 0
; COMPUTE_PGM_RSRC2:TGID_X_EN: 1
; COMPUTE_PGM_RSRC2:TGID_Y_EN: 0
; COMPUTE_PGM_RSRC2:TGID_Z_EN: 0
; COMPUTE_PGM_RSRC2:TIDIG_COMP_CNT: 0
; COMPUTE_PGM_RSRC3_GFX90A:ACCUM_OFFSET: 4
; COMPUTE_PGM_RSRC3_GFX90A:TG_SPLIT: 0
	.section	.text._Z6kernelI14subtract_rightLj256ELj32ELb1EJPaS1_jEEvDpT3_,"axG",@progbits,_Z6kernelI14subtract_rightLj256ELj32ELb1EJPaS1_jEEvDpT3_,comdat
	.protected	_Z6kernelI14subtract_rightLj256ELj32ELb1EJPaS1_jEEvDpT3_ ; -- Begin function _Z6kernelI14subtract_rightLj256ELj32ELb1EJPaS1_jEEvDpT3_
	.globl	_Z6kernelI14subtract_rightLj256ELj32ELb1EJPaS1_jEEvDpT3_
	.p2align	8
	.type	_Z6kernelI14subtract_rightLj256ELj32ELb1EJPaS1_jEEvDpT3_,@function
_Z6kernelI14subtract_rightLj256ELj32ELb1EJPaS1_jEEvDpT3_: ; @_Z6kernelI14subtract_rightLj256ELj32ELb1EJPaS1_jEEvDpT3_
; %bb.0:
	s_load_dwordx4 s[0:3], s[4:5], 0x0
	s_load_dword s7, s[4:5], 0x10
	s_lshl_b32 s4, s6, 13
	s_waitcnt lgkmcnt(0)
	s_add_u32 s0, s0, s4
	s_addc_u32 s1, s1, 0
	v_mov_b32_e32 v1, s1
	v_add_co_u32_e32 v2, vcc, s0, v0
	v_addc_co_u32_e32 v1, vcc, 0, v1, vcc
	global_load_ubyte v32, v0, s[0:1]
	global_load_ubyte v31, v0, s[0:1] offset:256
	global_load_ubyte v30, v0, s[0:1] offset:512
	;; [unrolled: 1-line block ×15, first 2 shown]
	s_movk_i32 s0, 0x1000
	v_add_co_u32_e32 v34, vcc, s0, v2
	v_addc_co_u32_e32 v35, vcc, 0, v1, vcc
	global_load_ubyte v16, v[34:35], off
	global_load_ubyte v15, v[34:35], off offset:256
	global_load_ubyte v14, v[34:35], off offset:512
	;; [unrolled: 1-line block ×15, first 2 shown]
	s_cmp_eq_u32 s7, 0
	s_cbranch_scc1 .LBB107_5
; %bb.1:
	s_movk_i32 s0, 0xff
	v_cmp_ne_u32_e32 vcc, s0, v0
	s_branch .LBB107_3
.LBB107_2:                              ;   in Loop: Header=BB107_3 Depth=1
	s_or_b64 exec, exec, s[0:1]
	s_waitcnt vmcnt(30)
	v_sub_u16_e32 v34, v32, v31
	s_waitcnt vmcnt(29)
	v_sub_u16_e32 v35, v31, v30
	;; [unrolled: 2-line block ×27, first 2 shown]
	v_add_u16_e32 v32, v34, v32
	s_waitcnt vmcnt(3)
	v_sub_u16_e32 v34, v5, v4
	v_add_u16_e32 v31, v35, v31
	s_waitcnt vmcnt(2)
	v_sub_u16_e32 v35, v4, v3
	;; [unrolled: 3-line block ×4, first 2 shown]
	s_waitcnt lgkmcnt(0)
	v_sub_u16_e32 v33, v1, v33
	s_add_i32 s7, s7, -1
	v_add_u16_e32 v28, v38, v28
	v_add_u16_e32 v27, v39, v27
	;; [unrolled: 1-line block ×28, first 2 shown]
	s_cmp_lg_u32 s7, 0
	s_barrier
	s_cbranch_scc0 .LBB107_5
.LBB107_3:                              ; =>This Inner Loop Header: Depth=1
	v_mov_b32_e32 v33, 0x7b
	s_waitcnt vmcnt(31)
	ds_write_b8 v0, v32 offset:256
	s_waitcnt lgkmcnt(0)
	s_barrier
	s_and_saveexec_b64 s[0:1], vcc
	s_cbranch_execz .LBB107_2
; %bb.4:                                ;   in Loop: Header=BB107_3 Depth=1
	ds_read_u8 v33, v0 offset:257
	s_branch .LBB107_2
.LBB107_5:
	s_add_u32 s0, s2, s4
	s_addc_u32 s1, s3, 0
	v_mov_b32_e32 v33, s1
	v_add_co_u32_e32 v34, vcc, s0, v0
	v_addc_co_u32_e32 v35, vcc, 0, v33, vcc
	s_movk_i32 s0, 0x1000
	s_waitcnt vmcnt(31)
	global_store_byte v[34:35], v32, off
	s_waitcnt vmcnt(31)
	global_store_byte v[34:35], v31, off offset:256
	s_waitcnt vmcnt(31)
	global_store_byte v[34:35], v30, off offset:512
	;; [unrolled: 2-line block ×15, first 2 shown]
	v_add_co_u32_e32 v18, vcc, s0, v34
	v_addc_co_u32_e32 v19, vcc, 0, v35, vcc
	s_waitcnt vmcnt(31)
	global_store_byte v[18:19], v16, off
	s_waitcnt vmcnt(31)
	global_store_byte v[18:19], v15, off offset:256
	s_waitcnt vmcnt(31)
	global_store_byte v[18:19], v14, off offset:512
	s_waitcnt vmcnt(31)
	global_store_byte v[18:19], v13, off offset:768
	s_waitcnt vmcnt(31)
	global_store_byte v[18:19], v12, off offset:1024
	s_waitcnt vmcnt(31)
	global_store_byte v[18:19], v11, off offset:1280
	s_waitcnt vmcnt(31)
	global_store_byte v[18:19], v10, off offset:1536
	s_waitcnt vmcnt(31)
	global_store_byte v[18:19], v9, off offset:1792
	s_waitcnt vmcnt(31)
	global_store_byte v[18:19], v8, off offset:2048
	s_waitcnt vmcnt(31)
	global_store_byte v[18:19], v7, off offset:2304
	s_waitcnt vmcnt(31)
	global_store_byte v[18:19], v6, off offset:2560
	s_waitcnt vmcnt(31)
	global_store_byte v[18:19], v5, off offset:2816
	s_waitcnt vmcnt(31)
	global_store_byte v[18:19], v4, off offset:3072
	s_waitcnt vmcnt(31)
	global_store_byte v[18:19], v3, off offset:3328
	s_waitcnt vmcnt(31)
	global_store_byte v[18:19], v2, off offset:3584
	s_waitcnt vmcnt(31)
	global_store_byte v[18:19], v1, off offset:3840
	s_endpgm
	.section	.rodata,"a",@progbits
	.p2align	6, 0x0
	.amdhsa_kernel _Z6kernelI14subtract_rightLj256ELj32ELb1EJPaS1_jEEvDpT3_
		.amdhsa_group_segment_fixed_size 512
		.amdhsa_private_segment_fixed_size 0
		.amdhsa_kernarg_size 20
		.amdhsa_user_sgpr_count 6
		.amdhsa_user_sgpr_private_segment_buffer 1
		.amdhsa_user_sgpr_dispatch_ptr 0
		.amdhsa_user_sgpr_queue_ptr 0
		.amdhsa_user_sgpr_kernarg_segment_ptr 1
		.amdhsa_user_sgpr_dispatch_id 0
		.amdhsa_user_sgpr_flat_scratch_init 0
		.amdhsa_user_sgpr_kernarg_preload_length 0
		.amdhsa_user_sgpr_kernarg_preload_offset 0
		.amdhsa_user_sgpr_private_segment_size 0
		.amdhsa_uses_dynamic_stack 0
		.amdhsa_system_sgpr_private_segment_wavefront_offset 0
		.amdhsa_system_sgpr_workgroup_id_x 1
		.amdhsa_system_sgpr_workgroup_id_y 0
		.amdhsa_system_sgpr_workgroup_id_z 0
		.amdhsa_system_sgpr_workgroup_info 0
		.amdhsa_system_vgpr_workitem_id 0
		.amdhsa_next_free_vgpr 61
		.amdhsa_next_free_sgpr 8
		.amdhsa_accum_offset 64
		.amdhsa_reserve_vcc 1
		.amdhsa_reserve_flat_scratch 0
		.amdhsa_float_round_mode_32 0
		.amdhsa_float_round_mode_16_64 0
		.amdhsa_float_denorm_mode_32 3
		.amdhsa_float_denorm_mode_16_64 3
		.amdhsa_dx10_clamp 1
		.amdhsa_ieee_mode 1
		.amdhsa_fp16_overflow 0
		.amdhsa_tg_split 0
		.amdhsa_exception_fp_ieee_invalid_op 0
		.amdhsa_exception_fp_denorm_src 0
		.amdhsa_exception_fp_ieee_div_zero 0
		.amdhsa_exception_fp_ieee_overflow 0
		.amdhsa_exception_fp_ieee_underflow 0
		.amdhsa_exception_fp_ieee_inexact 0
		.amdhsa_exception_int_div_zero 0
	.end_amdhsa_kernel
	.section	.text._Z6kernelI14subtract_rightLj256ELj32ELb1EJPaS1_jEEvDpT3_,"axG",@progbits,_Z6kernelI14subtract_rightLj256ELj32ELb1EJPaS1_jEEvDpT3_,comdat
.Lfunc_end107:
	.size	_Z6kernelI14subtract_rightLj256ELj32ELb1EJPaS1_jEEvDpT3_, .Lfunc_end107-_Z6kernelI14subtract_rightLj256ELj32ELb1EJPaS1_jEEvDpT3_
                                        ; -- End function
	.section	.AMDGPU.csdata,"",@progbits
; Kernel info:
; codeLenInByte = 1204
; NumSgprs: 12
; NumVgprs: 61
; NumAgprs: 0
; TotalNumVgprs: 61
; ScratchSize: 0
; MemoryBound: 0
; FloatMode: 240
; IeeeMode: 1
; LDSByteSize: 512 bytes/workgroup (compile time only)
; SGPRBlocks: 1
; VGPRBlocks: 7
; NumSGPRsForWavesPerEU: 12
; NumVGPRsForWavesPerEU: 61
; AccumOffset: 64
; Occupancy: 8
; WaveLimiterHint : 1
; COMPUTE_PGM_RSRC2:SCRATCH_EN: 0
; COMPUTE_PGM_RSRC2:USER_SGPR: 6
; COMPUTE_PGM_RSRC2:TRAP_HANDLER: 0
; COMPUTE_PGM_RSRC2:TGID_X_EN: 1
; COMPUTE_PGM_RSRC2:TGID_Y_EN: 0
; COMPUTE_PGM_RSRC2:TGID_Z_EN: 0
; COMPUTE_PGM_RSRC2:TIDIG_COMP_CNT: 0
; COMPUTE_PGM_RSRC3_GFX90A:ACCUM_OFFSET: 15
; COMPUTE_PGM_RSRC3_GFX90A:TG_SPLIT: 0
	.section	.text._Z6kernelI14subtract_rightLj256ELj1ELb1EJPxS1_jEEvDpT3_,"axG",@progbits,_Z6kernelI14subtract_rightLj256ELj1ELb1EJPxS1_jEEvDpT3_,comdat
	.protected	_Z6kernelI14subtract_rightLj256ELj1ELb1EJPxS1_jEEvDpT3_ ; -- Begin function _Z6kernelI14subtract_rightLj256ELj1ELb1EJPxS1_jEEvDpT3_
	.globl	_Z6kernelI14subtract_rightLj256ELj1ELb1EJPxS1_jEEvDpT3_
	.p2align	8
	.type	_Z6kernelI14subtract_rightLj256ELj1ELb1EJPxS1_jEEvDpT3_,@function
_Z6kernelI14subtract_rightLj256ELj1ELb1EJPxS1_jEEvDpT3_: ; @_Z6kernelI14subtract_rightLj256ELj1ELb1EJPxS1_jEEvDpT3_
; %bb.0:
	s_load_dwordx4 s[0:3], s[4:5], 0x0
	s_load_dword s7, s[4:5], 0x10
	s_lshl_b32 s4, s6, 8
	s_mov_b32 s5, 0
	s_lshl_b64 s[4:5], s[4:5], 3
	s_waitcnt lgkmcnt(0)
	s_add_u32 s0, s0, s4
	s_addc_u32 s1, s1, s5
	v_lshlrev_b32_e32 v4, 3, v0
	global_load_dwordx2 v[2:3], v4, s[0:1]
	s_cmp_eq_u32 s7, 0
	s_cbranch_scc1 .LBB108_5
; %bb.1:
	s_movk_i32 s0, 0xff
	v_cmp_ne_u32_e32 vcc, s0, v0
	v_or_b32_e32 v5, 0x800, v4
	s_branch .LBB108_3
.LBB108_2:                              ;   in Loop: Header=BB108_3 Depth=1
	s_or_b64 exec, exec, s[0:1]
	v_lshlrev_b64 v[2:3], 1, v[2:3]
	s_waitcnt lgkmcnt(0)
	v_sub_co_u32_e64 v2, s[0:1], v2, v0
	s_add_i32 s7, s7, -1
	v_subb_co_u32_e64 v3, s[0:1], v3, v1, s[0:1]
	s_cmp_lg_u32 s7, 0
	s_barrier
	s_cbranch_scc0 .LBB108_5
.LBB108_3:                              ; =>This Inner Loop Header: Depth=1
	v_mov_b32_e32 v0, 0x7b
	v_mov_b32_e32 v1, 0
	s_waitcnt vmcnt(0)
	ds_write_b64 v4, v[2:3] offset:2048
	s_waitcnt lgkmcnt(0)
	s_barrier
	s_and_saveexec_b64 s[0:1], vcc
	s_cbranch_execz .LBB108_2
; %bb.4:                                ;   in Loop: Header=BB108_3 Depth=1
	ds_read_b64 v[0:1], v5 offset:8
	s_branch .LBB108_2
.LBB108_5:
	s_add_u32 s0, s2, s4
	s_addc_u32 s1, s3, s5
	s_waitcnt vmcnt(0)
	global_store_dwordx2 v4, v[2:3], s[0:1]
	s_endpgm
	.section	.rodata,"a",@progbits
	.p2align	6, 0x0
	.amdhsa_kernel _Z6kernelI14subtract_rightLj256ELj1ELb1EJPxS1_jEEvDpT3_
		.amdhsa_group_segment_fixed_size 4096
		.amdhsa_private_segment_fixed_size 0
		.amdhsa_kernarg_size 20
		.amdhsa_user_sgpr_count 6
		.amdhsa_user_sgpr_private_segment_buffer 1
		.amdhsa_user_sgpr_dispatch_ptr 0
		.amdhsa_user_sgpr_queue_ptr 0
		.amdhsa_user_sgpr_kernarg_segment_ptr 1
		.amdhsa_user_sgpr_dispatch_id 0
		.amdhsa_user_sgpr_flat_scratch_init 0
		.amdhsa_user_sgpr_kernarg_preload_length 0
		.amdhsa_user_sgpr_kernarg_preload_offset 0
		.amdhsa_user_sgpr_private_segment_size 0
		.amdhsa_uses_dynamic_stack 0
		.amdhsa_system_sgpr_private_segment_wavefront_offset 0
		.amdhsa_system_sgpr_workgroup_id_x 1
		.amdhsa_system_sgpr_workgroup_id_y 0
		.amdhsa_system_sgpr_workgroup_id_z 0
		.amdhsa_system_sgpr_workgroup_info 0
		.amdhsa_system_vgpr_workitem_id 0
		.amdhsa_next_free_vgpr 6
		.amdhsa_next_free_sgpr 8
		.amdhsa_accum_offset 8
		.amdhsa_reserve_vcc 1
		.amdhsa_reserve_flat_scratch 0
		.amdhsa_float_round_mode_32 0
		.amdhsa_float_round_mode_16_64 0
		.amdhsa_float_denorm_mode_32 3
		.amdhsa_float_denorm_mode_16_64 3
		.amdhsa_dx10_clamp 1
		.amdhsa_ieee_mode 1
		.amdhsa_fp16_overflow 0
		.amdhsa_tg_split 0
		.amdhsa_exception_fp_ieee_invalid_op 0
		.amdhsa_exception_fp_denorm_src 0
		.amdhsa_exception_fp_ieee_div_zero 0
		.amdhsa_exception_fp_ieee_overflow 0
		.amdhsa_exception_fp_ieee_underflow 0
		.amdhsa_exception_fp_ieee_inexact 0
		.amdhsa_exception_int_div_zero 0
	.end_amdhsa_kernel
	.section	.text._Z6kernelI14subtract_rightLj256ELj1ELb1EJPxS1_jEEvDpT3_,"axG",@progbits,_Z6kernelI14subtract_rightLj256ELj1ELb1EJPxS1_jEEvDpT3_,comdat
.Lfunc_end108:
	.size	_Z6kernelI14subtract_rightLj256ELj1ELb1EJPxS1_jEEvDpT3_, .Lfunc_end108-_Z6kernelI14subtract_rightLj256ELj1ELb1EJPxS1_jEEvDpT3_
                                        ; -- End function
	.section	.AMDGPU.csdata,"",@progbits
; Kernel info:
; codeLenInByte = 204
; NumSgprs: 12
; NumVgprs: 6
; NumAgprs: 0
; TotalNumVgprs: 6
; ScratchSize: 0
; MemoryBound: 0
; FloatMode: 240
; IeeeMode: 1
; LDSByteSize: 4096 bytes/workgroup (compile time only)
; SGPRBlocks: 1
; VGPRBlocks: 0
; NumSGPRsForWavesPerEU: 12
; NumVGPRsForWavesPerEU: 6
; AccumOffset: 8
; Occupancy: 8
; WaveLimiterHint : 0
; COMPUTE_PGM_RSRC2:SCRATCH_EN: 0
; COMPUTE_PGM_RSRC2:USER_SGPR: 6
; COMPUTE_PGM_RSRC2:TRAP_HANDLER: 0
; COMPUTE_PGM_RSRC2:TGID_X_EN: 1
; COMPUTE_PGM_RSRC2:TGID_Y_EN: 0
; COMPUTE_PGM_RSRC2:TGID_Z_EN: 0
; COMPUTE_PGM_RSRC2:TIDIG_COMP_CNT: 0
; COMPUTE_PGM_RSRC3_GFX90A:ACCUM_OFFSET: 1
; COMPUTE_PGM_RSRC3_GFX90A:TG_SPLIT: 0
	.section	.text._Z6kernelI14subtract_rightLj256ELj3ELb1EJPxS1_jEEvDpT3_,"axG",@progbits,_Z6kernelI14subtract_rightLj256ELj3ELb1EJPxS1_jEEvDpT3_,comdat
	.protected	_Z6kernelI14subtract_rightLj256ELj3ELb1EJPxS1_jEEvDpT3_ ; -- Begin function _Z6kernelI14subtract_rightLj256ELj3ELb1EJPxS1_jEEvDpT3_
	.globl	_Z6kernelI14subtract_rightLj256ELj3ELb1EJPxS1_jEEvDpT3_
	.p2align	8
	.type	_Z6kernelI14subtract_rightLj256ELj3ELb1EJPxS1_jEEvDpT3_,@function
_Z6kernelI14subtract_rightLj256ELj3ELb1EJPxS1_jEEvDpT3_: ; @_Z6kernelI14subtract_rightLj256ELj3ELb1EJPxS1_jEEvDpT3_
; %bb.0:
	s_load_dwordx4 s[0:3], s[4:5], 0x0
	s_load_dword s7, s[4:5], 0x10
	s_mul_i32 s4, s6, 0x300
	s_mov_b32 s5, 0
	s_lshl_b64 s[4:5], s[4:5], 3
	s_waitcnt lgkmcnt(0)
	s_add_u32 s0, s0, s4
	s_addc_u32 s1, s1, s5
	v_lshlrev_b32_e32 v8, 3, v0
	v_mov_b32_e32 v1, s1
	v_add_co_u32_e32 v2, vcc, s0, v8
	v_addc_co_u32_e32 v1, vcc, 0, v1, vcc
	v_add_co_u32_e32 v10, vcc, 0x1000, v2
	v_addc_co_u32_e32 v11, vcc, 0, v1, vcc
	global_load_dwordx2 v[4:5], v8, s[0:1]
	global_load_dwordx2 v[6:7], v8, s[0:1] offset:2048
	global_load_dwordx2 v[2:3], v[10:11], off
	s_cmp_eq_u32 s7, 0
	s_cbranch_scc1 .LBB109_5
; %bb.1:
	s_movk_i32 s0, 0xff
	v_cmp_ne_u32_e32 vcc, s0, v0
	v_or_b32_e32 v9, 0x800, v8
	s_branch .LBB109_3
.LBB109_2:                              ;   in Loop: Header=BB109_3 Depth=1
	s_or_b64 exec, exec, s[0:1]
	v_lshlrev_b64 v[4:5], 1, v[4:5]
	s_waitcnt vmcnt(1)
	v_sub_co_u32_e64 v4, s[0:1], v4, v6
	v_subb_co_u32_e64 v5, s[0:1], v5, v7, s[0:1]
	v_lshlrev_b64 v[6:7], 1, v[6:7]
	s_waitcnt vmcnt(0)
	v_sub_co_u32_e64 v6, s[0:1], v6, v2
	v_subb_co_u32_e64 v7, s[0:1], v7, v3, s[0:1]
	v_lshlrev_b64 v[2:3], 1, v[2:3]
	s_waitcnt lgkmcnt(0)
	v_sub_co_u32_e64 v2, s[0:1], v2, v0
	s_add_i32 s7, s7, -1
	v_subb_co_u32_e64 v3, s[0:1], v3, v1, s[0:1]
	s_cmp_lg_u32 s7, 0
	s_barrier
	s_cbranch_scc0 .LBB109_5
.LBB109_3:                              ; =>This Inner Loop Header: Depth=1
	v_mov_b32_e32 v0, 0x7b
	v_mov_b32_e32 v1, 0
	s_waitcnt vmcnt(2)
	ds_write_b64 v8, v[4:5] offset:2048
	s_waitcnt lgkmcnt(0)
	s_barrier
	s_and_saveexec_b64 s[0:1], vcc
	s_cbranch_execz .LBB109_2
; %bb.4:                                ;   in Loop: Header=BB109_3 Depth=1
	ds_read_b64 v[0:1], v9 offset:8
	s_branch .LBB109_2
.LBB109_5:
	s_add_u32 s0, s2, s4
	s_addc_u32 s1, s3, s5
	v_mov_b32_e32 v0, s1
	v_add_co_u32_e32 v1, vcc, s0, v8
	v_addc_co_u32_e32 v9, vcc, 0, v0, vcc
	v_add_co_u32_e32 v0, vcc, 0x1000, v1
	v_addc_co_u32_e32 v1, vcc, 0, v9, vcc
	s_waitcnt vmcnt(2)
	global_store_dwordx2 v8, v[4:5], s[0:1]
	s_waitcnt vmcnt(2)
	global_store_dwordx2 v8, v[6:7], s[0:1] offset:2048
	s_waitcnt vmcnt(2)
	global_store_dwordx2 v[0:1], v[2:3], off
	s_endpgm
	.section	.rodata,"a",@progbits
	.p2align	6, 0x0
	.amdhsa_kernel _Z6kernelI14subtract_rightLj256ELj3ELb1EJPxS1_jEEvDpT3_
		.amdhsa_group_segment_fixed_size 4096
		.amdhsa_private_segment_fixed_size 0
		.amdhsa_kernarg_size 20
		.amdhsa_user_sgpr_count 6
		.amdhsa_user_sgpr_private_segment_buffer 1
		.amdhsa_user_sgpr_dispatch_ptr 0
		.amdhsa_user_sgpr_queue_ptr 0
		.amdhsa_user_sgpr_kernarg_segment_ptr 1
		.amdhsa_user_sgpr_dispatch_id 0
		.amdhsa_user_sgpr_flat_scratch_init 0
		.amdhsa_user_sgpr_kernarg_preload_length 0
		.amdhsa_user_sgpr_kernarg_preload_offset 0
		.amdhsa_user_sgpr_private_segment_size 0
		.amdhsa_uses_dynamic_stack 0
		.amdhsa_system_sgpr_private_segment_wavefront_offset 0
		.amdhsa_system_sgpr_workgroup_id_x 1
		.amdhsa_system_sgpr_workgroup_id_y 0
		.amdhsa_system_sgpr_workgroup_id_z 0
		.amdhsa_system_sgpr_workgroup_info 0
		.amdhsa_system_vgpr_workitem_id 0
		.amdhsa_next_free_vgpr 12
		.amdhsa_next_free_sgpr 8
		.amdhsa_accum_offset 12
		.amdhsa_reserve_vcc 1
		.amdhsa_reserve_flat_scratch 0
		.amdhsa_float_round_mode_32 0
		.amdhsa_float_round_mode_16_64 0
		.amdhsa_float_denorm_mode_32 3
		.amdhsa_float_denorm_mode_16_64 3
		.amdhsa_dx10_clamp 1
		.amdhsa_ieee_mode 1
		.amdhsa_fp16_overflow 0
		.amdhsa_tg_split 0
		.amdhsa_exception_fp_ieee_invalid_op 0
		.amdhsa_exception_fp_denorm_src 0
		.amdhsa_exception_fp_ieee_div_zero 0
		.amdhsa_exception_fp_ieee_overflow 0
		.amdhsa_exception_fp_ieee_underflow 0
		.amdhsa_exception_fp_ieee_inexact 0
		.amdhsa_exception_int_div_zero 0
	.end_amdhsa_kernel
	.section	.text._Z6kernelI14subtract_rightLj256ELj3ELb1EJPxS1_jEEvDpT3_,"axG",@progbits,_Z6kernelI14subtract_rightLj256ELj3ELb1EJPxS1_jEEvDpT3_,comdat
.Lfunc_end109:
	.size	_Z6kernelI14subtract_rightLj256ELj3ELb1EJPxS1_jEEvDpT3_, .Lfunc_end109-_Z6kernelI14subtract_rightLj256ELj3ELb1EJPxS1_jEEvDpT3_
                                        ; -- End function
	.section	.AMDGPU.csdata,"",@progbits
; Kernel info:
; codeLenInByte = 352
; NumSgprs: 12
; NumVgprs: 12
; NumAgprs: 0
; TotalNumVgprs: 12
; ScratchSize: 0
; MemoryBound: 0
; FloatMode: 240
; IeeeMode: 1
; LDSByteSize: 4096 bytes/workgroup (compile time only)
; SGPRBlocks: 1
; VGPRBlocks: 1
; NumSGPRsForWavesPerEU: 12
; NumVGPRsForWavesPerEU: 12
; AccumOffset: 12
; Occupancy: 8
; WaveLimiterHint : 1
; COMPUTE_PGM_RSRC2:SCRATCH_EN: 0
; COMPUTE_PGM_RSRC2:USER_SGPR: 6
; COMPUTE_PGM_RSRC2:TRAP_HANDLER: 0
; COMPUTE_PGM_RSRC2:TGID_X_EN: 1
; COMPUTE_PGM_RSRC2:TGID_Y_EN: 0
; COMPUTE_PGM_RSRC2:TGID_Z_EN: 0
; COMPUTE_PGM_RSRC2:TIDIG_COMP_CNT: 0
; COMPUTE_PGM_RSRC3_GFX90A:ACCUM_OFFSET: 2
; COMPUTE_PGM_RSRC3_GFX90A:TG_SPLIT: 0
	.section	.text._Z6kernelI14subtract_rightLj256ELj4ELb1EJPxS1_jEEvDpT3_,"axG",@progbits,_Z6kernelI14subtract_rightLj256ELj4ELb1EJPxS1_jEEvDpT3_,comdat
	.protected	_Z6kernelI14subtract_rightLj256ELj4ELb1EJPxS1_jEEvDpT3_ ; -- Begin function _Z6kernelI14subtract_rightLj256ELj4ELb1EJPxS1_jEEvDpT3_
	.globl	_Z6kernelI14subtract_rightLj256ELj4ELb1EJPxS1_jEEvDpT3_
	.p2align	8
	.type	_Z6kernelI14subtract_rightLj256ELj4ELb1EJPxS1_jEEvDpT3_,@function
_Z6kernelI14subtract_rightLj256ELj4ELb1EJPxS1_jEEvDpT3_: ; @_Z6kernelI14subtract_rightLj256ELj4ELb1EJPxS1_jEEvDpT3_
; %bb.0:
	s_load_dwordx4 s[0:3], s[4:5], 0x0
	s_load_dword s7, s[4:5], 0x10
	s_lshl_b32 s4, s6, 10
	s_mov_b32 s5, 0
	s_lshl_b64 s[4:5], s[4:5], 3
	s_waitcnt lgkmcnt(0)
	s_add_u32 s0, s0, s4
	s_addc_u32 s1, s1, s5
	v_lshlrev_b32_e32 v10, 3, v0
	v_mov_b32_e32 v1, s1
	v_add_co_u32_e32 v2, vcc, s0, v10
	v_addc_co_u32_e32 v1, vcc, 0, v1, vcc
	v_add_co_u32_e32 v12, vcc, 0x1000, v2
	v_addc_co_u32_e32 v13, vcc, 0, v1, vcc
	global_load_dwordx2 v[6:7], v10, s[0:1]
	global_load_dwordx2 v[8:9], v10, s[0:1] offset:2048
	global_load_dwordx2 v[2:3], v[12:13], off
	global_load_dwordx2 v[4:5], v[12:13], off offset:2048
	s_cmp_eq_u32 s7, 0
	s_cbranch_scc1 .LBB110_5
; %bb.1:
	s_movk_i32 s0, 0xff
	v_cmp_ne_u32_e32 vcc, s0, v0
	v_or_b32_e32 v11, 0x800, v10
	s_branch .LBB110_3
.LBB110_2:                              ;   in Loop: Header=BB110_3 Depth=1
	s_or_b64 exec, exec, s[0:1]
	v_lshlrev_b64 v[6:7], 1, v[6:7]
	s_waitcnt vmcnt(2)
	v_sub_co_u32_e64 v6, s[0:1], v6, v8
	v_subb_co_u32_e64 v7, s[0:1], v7, v9, s[0:1]
	v_lshlrev_b64 v[8:9], 1, v[8:9]
	s_waitcnt vmcnt(1)
	v_sub_co_u32_e64 v8, s[0:1], v8, v2
	v_subb_co_u32_e64 v9, s[0:1], v9, v3, s[0:1]
	;; [unrolled: 4-line block ×3, first 2 shown]
	v_lshlrev_b64 v[4:5], 1, v[4:5]
	s_waitcnt lgkmcnt(0)
	v_sub_co_u32_e64 v4, s[0:1], v4, v0
	s_add_i32 s7, s7, -1
	v_subb_co_u32_e64 v5, s[0:1], v5, v1, s[0:1]
	s_cmp_lg_u32 s7, 0
	s_barrier
	s_cbranch_scc0 .LBB110_5
.LBB110_3:                              ; =>This Inner Loop Header: Depth=1
	v_mov_b32_e32 v0, 0x7b
	v_mov_b32_e32 v1, 0
	s_waitcnt vmcnt(3)
	ds_write_b64 v10, v[6:7] offset:2048
	s_waitcnt lgkmcnt(0)
	s_barrier
	s_and_saveexec_b64 s[0:1], vcc
	s_cbranch_execz .LBB110_2
; %bb.4:                                ;   in Loop: Header=BB110_3 Depth=1
	ds_read_b64 v[0:1], v11 offset:8
	s_branch .LBB110_2
.LBB110_5:
	s_add_u32 s0, s2, s4
	s_addc_u32 s1, s3, s5
	v_mov_b32_e32 v0, s1
	v_add_co_u32_e32 v1, vcc, s0, v10
	v_addc_co_u32_e32 v11, vcc, 0, v0, vcc
	v_add_co_u32_e32 v0, vcc, 0x1000, v1
	v_addc_co_u32_e32 v1, vcc, 0, v11, vcc
	s_waitcnt vmcnt(3)
	global_store_dwordx2 v10, v[6:7], s[0:1]
	s_waitcnt vmcnt(3)
	global_store_dwordx2 v10, v[8:9], s[0:1] offset:2048
	s_waitcnt vmcnt(3)
	global_store_dwordx2 v[0:1], v[2:3], off
	s_waitcnt vmcnt(3)
	global_store_dwordx2 v[0:1], v[4:5], off offset:2048
	s_endpgm
	.section	.rodata,"a",@progbits
	.p2align	6, 0x0
	.amdhsa_kernel _Z6kernelI14subtract_rightLj256ELj4ELb1EJPxS1_jEEvDpT3_
		.amdhsa_group_segment_fixed_size 4096
		.amdhsa_private_segment_fixed_size 0
		.amdhsa_kernarg_size 20
		.amdhsa_user_sgpr_count 6
		.amdhsa_user_sgpr_private_segment_buffer 1
		.amdhsa_user_sgpr_dispatch_ptr 0
		.amdhsa_user_sgpr_queue_ptr 0
		.amdhsa_user_sgpr_kernarg_segment_ptr 1
		.amdhsa_user_sgpr_dispatch_id 0
		.amdhsa_user_sgpr_flat_scratch_init 0
		.amdhsa_user_sgpr_kernarg_preload_length 0
		.amdhsa_user_sgpr_kernarg_preload_offset 0
		.amdhsa_user_sgpr_private_segment_size 0
		.amdhsa_uses_dynamic_stack 0
		.amdhsa_system_sgpr_private_segment_wavefront_offset 0
		.amdhsa_system_sgpr_workgroup_id_x 1
		.amdhsa_system_sgpr_workgroup_id_y 0
		.amdhsa_system_sgpr_workgroup_id_z 0
		.amdhsa_system_sgpr_workgroup_info 0
		.amdhsa_system_vgpr_workitem_id 0
		.amdhsa_next_free_vgpr 14
		.amdhsa_next_free_sgpr 8
		.amdhsa_accum_offset 16
		.amdhsa_reserve_vcc 1
		.amdhsa_reserve_flat_scratch 0
		.amdhsa_float_round_mode_32 0
		.amdhsa_float_round_mode_16_64 0
		.amdhsa_float_denorm_mode_32 3
		.amdhsa_float_denorm_mode_16_64 3
		.amdhsa_dx10_clamp 1
		.amdhsa_ieee_mode 1
		.amdhsa_fp16_overflow 0
		.amdhsa_tg_split 0
		.amdhsa_exception_fp_ieee_invalid_op 0
		.amdhsa_exception_fp_denorm_src 0
		.amdhsa_exception_fp_ieee_div_zero 0
		.amdhsa_exception_fp_ieee_overflow 0
		.amdhsa_exception_fp_ieee_underflow 0
		.amdhsa_exception_fp_ieee_inexact 0
		.amdhsa_exception_int_div_zero 0
	.end_amdhsa_kernel
	.section	.text._Z6kernelI14subtract_rightLj256ELj4ELb1EJPxS1_jEEvDpT3_,"axG",@progbits,_Z6kernelI14subtract_rightLj256ELj4ELb1EJPxS1_jEEvDpT3_,comdat
.Lfunc_end110:
	.size	_Z6kernelI14subtract_rightLj256ELj4ELb1EJPxS1_jEEvDpT3_, .Lfunc_end110-_Z6kernelI14subtract_rightLj256ELj4ELb1EJPxS1_jEEvDpT3_
                                        ; -- End function
	.section	.AMDGPU.csdata,"",@progbits
; Kernel info:
; codeLenInByte = 396
; NumSgprs: 12
; NumVgprs: 14
; NumAgprs: 0
; TotalNumVgprs: 14
; ScratchSize: 0
; MemoryBound: 0
; FloatMode: 240
; IeeeMode: 1
; LDSByteSize: 4096 bytes/workgroup (compile time only)
; SGPRBlocks: 1
; VGPRBlocks: 1
; NumSGPRsForWavesPerEU: 12
; NumVGPRsForWavesPerEU: 14
; AccumOffset: 16
; Occupancy: 8
; WaveLimiterHint : 1
; COMPUTE_PGM_RSRC2:SCRATCH_EN: 0
; COMPUTE_PGM_RSRC2:USER_SGPR: 6
; COMPUTE_PGM_RSRC2:TRAP_HANDLER: 0
; COMPUTE_PGM_RSRC2:TGID_X_EN: 1
; COMPUTE_PGM_RSRC2:TGID_Y_EN: 0
; COMPUTE_PGM_RSRC2:TGID_Z_EN: 0
; COMPUTE_PGM_RSRC2:TIDIG_COMP_CNT: 0
; COMPUTE_PGM_RSRC3_GFX90A:ACCUM_OFFSET: 3
; COMPUTE_PGM_RSRC3_GFX90A:TG_SPLIT: 0
	.section	.text._Z6kernelI14subtract_rightLj256ELj8ELb1EJPxS1_jEEvDpT3_,"axG",@progbits,_Z6kernelI14subtract_rightLj256ELj8ELb1EJPxS1_jEEvDpT3_,comdat
	.protected	_Z6kernelI14subtract_rightLj256ELj8ELb1EJPxS1_jEEvDpT3_ ; -- Begin function _Z6kernelI14subtract_rightLj256ELj8ELb1EJPxS1_jEEvDpT3_
	.globl	_Z6kernelI14subtract_rightLj256ELj8ELb1EJPxS1_jEEvDpT3_
	.p2align	8
	.type	_Z6kernelI14subtract_rightLj256ELj8ELb1EJPxS1_jEEvDpT3_,@function
_Z6kernelI14subtract_rightLj256ELj8ELb1EJPxS1_jEEvDpT3_: ; @_Z6kernelI14subtract_rightLj256ELj8ELb1EJPxS1_jEEvDpT3_
; %bb.0:
	s_load_dwordx4 s[0:3], s[4:5], 0x0
	s_load_dword s7, s[4:5], 0x10
	s_lshl_b32 s4, s6, 11
	s_mov_b32 s5, 0
	s_lshl_b64 s[4:5], s[4:5], 3
	s_waitcnt lgkmcnt(0)
	s_add_u32 s0, s0, s4
	s_addc_u32 s1, s1, s5
	v_lshlrev_b32_e32 v18, 3, v0
	v_mov_b32_e32 v1, s1
	v_add_co_u32_e32 v12, vcc, s0, v18
	v_addc_co_u32_e32 v1, vcc, 0, v1, vcc
	s_movk_i32 s6, 0x1000
	v_add_co_u32_e32 v10, vcc, s6, v12
	v_addc_co_u32_e32 v11, vcc, 0, v1, vcc
	v_add_co_u32_e32 v20, vcc, 0x2000, v12
	v_addc_co_u32_e32 v21, vcc, 0, v1, vcc
	v_add_co_u32_e32 v22, vcc, 0x3000, v12
	global_load_dwordx2 v[6:7], v18, s[0:1]
	global_load_dwordx2 v[8:9], v18, s[0:1] offset:2048
	global_load_dwordx2 v[2:3], v[10:11], off
	global_load_dwordx2 v[4:5], v[10:11], off offset:2048
	v_addc_co_u32_e32 v23, vcc, 0, v1, vcc
	global_load_dwordx2 v[14:15], v[20:21], off
	global_load_dwordx2 v[16:17], v[20:21], off offset:2048
	global_load_dwordx2 v[10:11], v[22:23], off
	global_load_dwordx2 v[12:13], v[22:23], off offset:2048
	s_cmp_eq_u32 s7, 0
	s_cbranch_scc1 .LBB111_5
; %bb.1:
	s_movk_i32 s0, 0xff
	v_cmp_ne_u32_e32 vcc, s0, v0
	v_or_b32_e32 v19, 0x800, v18
	s_branch .LBB111_3
.LBB111_2:                              ;   in Loop: Header=BB111_3 Depth=1
	s_or_b64 exec, exec, s[0:1]
	s_waitcnt vmcnt(6)
	v_sub_co_u32_e64 v20, s[0:1], v6, v8
	v_subb_co_u32_e64 v21, s[0:1], v7, v9, s[0:1]
	s_waitcnt vmcnt(5)
	v_sub_co_u32_e64 v22, s[0:1], v8, v2
	v_subb_co_u32_e64 v23, s[0:1], v9, v3, s[0:1]
	;; [unrolled: 3-line block ×7, first 2 shown]
	s_waitcnt lgkmcnt(0)
	v_sub_co_u32_e64 v0, s[0:1], v12, v0
	v_subb_co_u32_e64 v1, s[0:1], v13, v1, s[0:1]
	v_add_co_u32_e64 v6, s[0:1], v20, v6
	v_addc_co_u32_e64 v7, s[0:1], v21, v7, s[0:1]
	v_add_co_u32_e64 v8, s[0:1], v22, v8
	v_addc_co_u32_e64 v9, s[0:1], v23, v9, s[0:1]
	v_add_co_u32_e64 v2, s[0:1], v24, v2
	v_addc_co_u32_e64 v3, s[0:1], v25, v3, s[0:1]
	v_add_co_u32_e64 v4, s[0:1], v26, v4
	v_addc_co_u32_e64 v5, s[0:1], v27, v5, s[0:1]
	v_add_co_u32_e64 v14, s[0:1], v28, v14
	v_addc_co_u32_e64 v15, s[0:1], v29, v15, s[0:1]
	v_add_co_u32_e64 v16, s[0:1], v30, v16
	v_addc_co_u32_e64 v17, s[0:1], v31, v17, s[0:1]
	v_add_co_u32_e64 v10, s[0:1], v32, v10
	v_addc_co_u32_e64 v11, s[0:1], v33, v11, s[0:1]
	v_add_co_u32_e64 v12, s[0:1], v0, v12
	s_add_i32 s7, s7, -1
	v_addc_co_u32_e64 v13, s[0:1], v1, v13, s[0:1]
	s_cmp_lg_u32 s7, 0
	s_barrier
	s_cbranch_scc0 .LBB111_5
.LBB111_3:                              ; =>This Inner Loop Header: Depth=1
	v_mov_b32_e32 v0, 0x7b
	v_mov_b32_e32 v1, 0
	s_waitcnt vmcnt(7)
	ds_write_b64 v18, v[6:7] offset:2048
	s_waitcnt lgkmcnt(0)
	s_barrier
	s_and_saveexec_b64 s[0:1], vcc
	s_cbranch_execz .LBB111_2
; %bb.4:                                ;   in Loop: Header=BB111_3 Depth=1
	ds_read_b64 v[0:1], v19 offset:8
	s_branch .LBB111_2
.LBB111_5:
	s_add_u32 s0, s2, s4
	s_addc_u32 s1, s3, s5
	v_mov_b32_e32 v0, s1
	v_add_co_u32_e32 v19, vcc, s0, v18
	v_addc_co_u32_e32 v20, vcc, 0, v0, vcc
	v_add_co_u32_e32 v0, vcc, 0x1000, v19
	v_addc_co_u32_e32 v1, vcc, 0, v20, vcc
	s_waitcnt vmcnt(7)
	global_store_dwordx2 v18, v[6:7], s[0:1]
	s_waitcnt vmcnt(7)
	global_store_dwordx2 v18, v[8:9], s[0:1] offset:2048
	s_waitcnt vmcnt(7)
	global_store_dwordx2 v[0:1], v[2:3], off
	s_waitcnt vmcnt(7)
	global_store_dwordx2 v[0:1], v[4:5], off offset:2048
	v_add_co_u32_e32 v0, vcc, 0x2000, v19
	v_addc_co_u32_e32 v1, vcc, 0, v20, vcc
	s_waitcnt vmcnt(7)
	global_store_dwordx2 v[0:1], v[14:15], off
	s_waitcnt vmcnt(7)
	global_store_dwordx2 v[0:1], v[16:17], off offset:2048
	v_add_co_u32_e32 v0, vcc, 0x3000, v19
	v_addc_co_u32_e32 v1, vcc, 0, v20, vcc
	s_waitcnt vmcnt(7)
	global_store_dwordx2 v[0:1], v[10:11], off
	s_waitcnt vmcnt(7)
	global_store_dwordx2 v[0:1], v[12:13], off offset:2048
	s_endpgm
	.section	.rodata,"a",@progbits
	.p2align	6, 0x0
	.amdhsa_kernel _Z6kernelI14subtract_rightLj256ELj8ELb1EJPxS1_jEEvDpT3_
		.amdhsa_group_segment_fixed_size 4096
		.amdhsa_private_segment_fixed_size 0
		.amdhsa_kernarg_size 20
		.amdhsa_user_sgpr_count 6
		.amdhsa_user_sgpr_private_segment_buffer 1
		.amdhsa_user_sgpr_dispatch_ptr 0
		.amdhsa_user_sgpr_queue_ptr 0
		.amdhsa_user_sgpr_kernarg_segment_ptr 1
		.amdhsa_user_sgpr_dispatch_id 0
		.amdhsa_user_sgpr_flat_scratch_init 0
		.amdhsa_user_sgpr_kernarg_preload_length 0
		.amdhsa_user_sgpr_kernarg_preload_offset 0
		.amdhsa_user_sgpr_private_segment_size 0
		.amdhsa_uses_dynamic_stack 0
		.amdhsa_system_sgpr_private_segment_wavefront_offset 0
		.amdhsa_system_sgpr_workgroup_id_x 1
		.amdhsa_system_sgpr_workgroup_id_y 0
		.amdhsa_system_sgpr_workgroup_id_z 0
		.amdhsa_system_sgpr_workgroup_info 0
		.amdhsa_system_vgpr_workitem_id 0
		.amdhsa_next_free_vgpr 34
		.amdhsa_next_free_sgpr 8
		.amdhsa_accum_offset 36
		.amdhsa_reserve_vcc 1
		.amdhsa_reserve_flat_scratch 0
		.amdhsa_float_round_mode_32 0
		.amdhsa_float_round_mode_16_64 0
		.amdhsa_float_denorm_mode_32 3
		.amdhsa_float_denorm_mode_16_64 3
		.amdhsa_dx10_clamp 1
		.amdhsa_ieee_mode 1
		.amdhsa_fp16_overflow 0
		.amdhsa_tg_split 0
		.amdhsa_exception_fp_ieee_invalid_op 0
		.amdhsa_exception_fp_denorm_src 0
		.amdhsa_exception_fp_ieee_div_zero 0
		.amdhsa_exception_fp_ieee_overflow 0
		.amdhsa_exception_fp_ieee_underflow 0
		.amdhsa_exception_fp_ieee_inexact 0
		.amdhsa_exception_int_div_zero 0
	.end_amdhsa_kernel
	.section	.text._Z6kernelI14subtract_rightLj256ELj8ELb1EJPxS1_jEEvDpT3_,"axG",@progbits,_Z6kernelI14subtract_rightLj256ELj8ELb1EJPxS1_jEEvDpT3_,comdat
.Lfunc_end111:
	.size	_Z6kernelI14subtract_rightLj256ELj8ELb1EJPxS1_jEEvDpT3_, .Lfunc_end111-_Z6kernelI14subtract_rightLj256ELj8ELb1EJPxS1_jEEvDpT3_
                                        ; -- End function
	.section	.AMDGPU.csdata,"",@progbits
; Kernel info:
; codeLenInByte = 700
; NumSgprs: 12
; NumVgprs: 34
; NumAgprs: 0
; TotalNumVgprs: 34
; ScratchSize: 0
; MemoryBound: 0
; FloatMode: 240
; IeeeMode: 1
; LDSByteSize: 4096 bytes/workgroup (compile time only)
; SGPRBlocks: 1
; VGPRBlocks: 4
; NumSGPRsForWavesPerEU: 12
; NumVGPRsForWavesPerEU: 34
; AccumOffset: 36
; Occupancy: 8
; WaveLimiterHint : 1
; COMPUTE_PGM_RSRC2:SCRATCH_EN: 0
; COMPUTE_PGM_RSRC2:USER_SGPR: 6
; COMPUTE_PGM_RSRC2:TRAP_HANDLER: 0
; COMPUTE_PGM_RSRC2:TGID_X_EN: 1
; COMPUTE_PGM_RSRC2:TGID_Y_EN: 0
; COMPUTE_PGM_RSRC2:TGID_Z_EN: 0
; COMPUTE_PGM_RSRC2:TIDIG_COMP_CNT: 0
; COMPUTE_PGM_RSRC3_GFX90A:ACCUM_OFFSET: 8
; COMPUTE_PGM_RSRC3_GFX90A:TG_SPLIT: 0
	.section	.text._Z6kernelI14subtract_rightLj256ELj16ELb1EJPxS1_jEEvDpT3_,"axG",@progbits,_Z6kernelI14subtract_rightLj256ELj16ELb1EJPxS1_jEEvDpT3_,comdat
	.protected	_Z6kernelI14subtract_rightLj256ELj16ELb1EJPxS1_jEEvDpT3_ ; -- Begin function _Z6kernelI14subtract_rightLj256ELj16ELb1EJPxS1_jEEvDpT3_
	.globl	_Z6kernelI14subtract_rightLj256ELj16ELb1EJPxS1_jEEvDpT3_
	.p2align	8
	.type	_Z6kernelI14subtract_rightLj256ELj16ELb1EJPxS1_jEEvDpT3_,@function
_Z6kernelI14subtract_rightLj256ELj16ELb1EJPxS1_jEEvDpT3_: ; @_Z6kernelI14subtract_rightLj256ELj16ELb1EJPxS1_jEEvDpT3_
; %bb.0:
	s_load_dwordx4 s[0:3], s[4:5], 0x0
	s_load_dword s7, s[4:5], 0x10
	s_lshl_b32 s4, s6, 12
	s_mov_b32 s5, 0
	s_lshl_b64 s[4:5], s[4:5], 3
	s_waitcnt lgkmcnt(0)
	s_add_u32 s0, s0, s4
	s_addc_u32 s1, s1, s5
	v_lshlrev_b32_e32 v34, 3, v0
	v_mov_b32_e32 v1, s1
	v_add_co_u32_e32 v32, vcc, s0, v34
	v_addc_co_u32_e32 v1, vcc, 0, v1, vcc
	s_movk_i32 s6, 0x1000
	v_add_co_u32_e32 v12, vcc, s6, v32
	v_addc_co_u32_e32 v13, vcc, 0, v1, vcc
	s_movk_i32 s6, 0x2000
	;; [unrolled: 3-line block ×4, first 2 shown]
	v_add_co_u32_e32 v16, vcc, s6, v32
	global_load_dwordx2 v[2:3], v[36:37], off
	v_addc_co_u32_e32 v17, vcc, 0, v1, vcc
	global_load_dwordx2 v[28:29], v34, s[0:1]
	global_load_dwordx2 v[30:31], v34, s[0:1] offset:2048
	global_load_dwordx2 v[26:27], v[12:13], off offset:2048
	global_load_dwordx2 v[8:9], v[14:15], off offset:2048
	;; [unrolled: 1-line block ×3, first 2 shown]
	global_load_dwordx2 v[10:11], v[16:17], off offset:-4096
	global_load_dwordx2 v[4:5], v[16:17], off
	global_load_dwordx2 v[6:7], v[16:17], off offset:2048
	s_movk_i32 s0, 0x5000
	v_add_co_u32_e32 v16, vcc, s0, v32
	v_addc_co_u32_e32 v17, vcc, 0, v1, vcc
	v_add_co_u32_e32 v22, vcc, 0x6000, v32
	v_addc_co_u32_e32 v23, vcc, 0, v1, vcc
	v_add_co_u32_e32 v38, vcc, 0x7000, v32
	global_load_dwordx2 v[18:19], v[16:17], off
	global_load_dwordx2 v[20:21], v[16:17], off offset:2048
	global_load_dwordx2 v[12:13], v[22:23], off
	global_load_dwordx2 v[14:15], v[22:23], off offset:2048
	v_addc_co_u32_e32 v39, vcc, 0, v1, vcc
	global_load_dwordx2 v[16:17], v[38:39], off
	global_load_dwordx2 v[32:33], v[36:37], off offset:-4096
	global_load_dwordx2 v[22:23], v[38:39], off offset:2048
	s_cmp_eq_u32 s7, 0
	s_cbranch_scc1 .LBB112_5
; %bb.1:
	s_movk_i32 s0, 0xff
	v_cmp_ne_u32_e32 vcc, s0, v0
	v_or_b32_e32 v35, 0x800, v34
	s_branch .LBB112_3
.LBB112_2:                              ;   in Loop: Header=BB112_3 Depth=1
	s_or_b64 exec, exec, s[0:1]
	s_waitcnt vmcnt(13)
	v_sub_co_u32_e64 v36, s[0:1], v28, v30
	v_subb_co_u32_e64 v37, s[0:1], v29, v31, s[0:1]
	s_waitcnt vmcnt(1)
	v_sub_co_u32_e64 v38, s[0:1], v30, v32
	v_subb_co_u32_e64 v39, s[0:1], v31, v33, s[0:1]
	v_sub_co_u32_e64 v40, s[0:1], v32, v26
	v_subb_co_u32_e64 v41, s[0:1], v33, v27, s[0:1]
	;; [unrolled: 2-line block ×11, first 2 shown]
	s_waitcnt vmcnt(0) lgkmcnt(0)
	v_sub_co_u32_e64 v0, s[0:1], v22, v0
	v_subb_co_u32_e64 v1, s[0:1], v23, v1, s[0:1]
	v_sub_co_u32_e64 v60, s[0:1], v12, v14
	v_subb_co_u32_e64 v61, s[0:1], v13, v15, s[0:1]
	v_add_co_u32_e64 v28, s[0:1], v36, v28
	v_addc_co_u32_e64 v29, s[0:1], v37, v29, s[0:1]
	v_sub_co_u32_e64 v36, s[0:1], v14, v16
	v_subb_co_u32_e64 v37, s[0:1], v15, v17, s[0:1]
	v_add_co_u32_e64 v30, s[0:1], v38, v30
	v_addc_co_u32_e64 v31, s[0:1], v39, v31, s[0:1]
	;; [unrolled: 4-line block ×3, first 2 shown]
	v_add_co_u32_e64 v26, s[0:1], v42, v26
	v_addc_co_u32_e64 v27, s[0:1], v43, v27, s[0:1]
	v_add_co_u32_e64 v2, s[0:1], v44, v2
	v_addc_co_u32_e64 v3, s[0:1], v45, v3, s[0:1]
	;; [unrolled: 2-line block ×12, first 2 shown]
	v_add_co_u32_e64 v22, s[0:1], v0, v22
	s_add_i32 s7, s7, -1
	v_addc_co_u32_e64 v23, s[0:1], v1, v23, s[0:1]
	s_cmp_lg_u32 s7, 0
	s_barrier
	s_cbranch_scc0 .LBB112_5
.LBB112_3:                              ; =>This Inner Loop Header: Depth=1
	v_mov_b32_e32 v0, 0x7b
	v_mov_b32_e32 v1, 0
	s_waitcnt vmcnt(14)
	ds_write_b64 v34, v[28:29] offset:2048
	s_waitcnt lgkmcnt(0)
	s_barrier
	s_and_saveexec_b64 s[0:1], vcc
	s_cbranch_execz .LBB112_2
; %bb.4:                                ;   in Loop: Header=BB112_3 Depth=1
	ds_read_b64 v[0:1], v35 offset:8
	s_branch .LBB112_2
.LBB112_5:
	s_add_u32 s0, s2, s4
	s_addc_u32 s1, s3, s5
	v_mov_b32_e32 v0, s1
	v_add_co_u32_e32 v35, vcc, s0, v34
	v_addc_co_u32_e32 v36, vcc, 0, v0, vcc
	v_add_co_u32_e32 v0, vcc, 0x1000, v35
	v_addc_co_u32_e32 v1, vcc, 0, v36, vcc
	s_waitcnt vmcnt(14)
	global_store_dwordx2 v34, v[28:29], s[0:1]
	s_waitcnt vmcnt(14)
	global_store_dwordx2 v34, v[30:31], s[0:1] offset:2048
	s_waitcnt vmcnt(3)
	global_store_dwordx2 v[0:1], v[32:33], off
	global_store_dwordx2 v[0:1], v[26:27], off offset:2048
	v_add_co_u32_e32 v0, vcc, 0x2000, v35
	v_addc_co_u32_e32 v1, vcc, 0, v36, vcc
	global_store_dwordx2 v[0:1], v[2:3], off
	global_store_dwordx2 v[0:1], v[24:25], off offset:2048
	v_add_co_u32_e32 v0, vcc, 0x3000, v35
	v_addc_co_u32_e32 v1, vcc, 0, v36, vcc
	;; [unrolled: 4-line block ×6, first 2 shown]
	global_store_dwordx2 v[0:1], v[16:17], off
	s_waitcnt vmcnt(15)
	global_store_dwordx2 v[0:1], v[22:23], off offset:2048
	s_endpgm
	.section	.rodata,"a",@progbits
	.p2align	6, 0x0
	.amdhsa_kernel _Z6kernelI14subtract_rightLj256ELj16ELb1EJPxS1_jEEvDpT3_
		.amdhsa_group_segment_fixed_size 4096
		.amdhsa_private_segment_fixed_size 0
		.amdhsa_kernarg_size 20
		.amdhsa_user_sgpr_count 6
		.amdhsa_user_sgpr_private_segment_buffer 1
		.amdhsa_user_sgpr_dispatch_ptr 0
		.amdhsa_user_sgpr_queue_ptr 0
		.amdhsa_user_sgpr_kernarg_segment_ptr 1
		.amdhsa_user_sgpr_dispatch_id 0
		.amdhsa_user_sgpr_flat_scratch_init 0
		.amdhsa_user_sgpr_kernarg_preload_length 0
		.amdhsa_user_sgpr_kernarg_preload_offset 0
		.amdhsa_user_sgpr_private_segment_size 0
		.amdhsa_uses_dynamic_stack 0
		.amdhsa_system_sgpr_private_segment_wavefront_offset 0
		.amdhsa_system_sgpr_workgroup_id_x 1
		.amdhsa_system_sgpr_workgroup_id_y 0
		.amdhsa_system_sgpr_workgroup_id_z 0
		.amdhsa_system_sgpr_workgroup_info 0
		.amdhsa_system_vgpr_workitem_id 0
		.amdhsa_next_free_vgpr 62
		.amdhsa_next_free_sgpr 8
		.amdhsa_accum_offset 64
		.amdhsa_reserve_vcc 1
		.amdhsa_reserve_flat_scratch 0
		.amdhsa_float_round_mode_32 0
		.amdhsa_float_round_mode_16_64 0
		.amdhsa_float_denorm_mode_32 3
		.amdhsa_float_denorm_mode_16_64 3
		.amdhsa_dx10_clamp 1
		.amdhsa_ieee_mode 1
		.amdhsa_fp16_overflow 0
		.amdhsa_tg_split 0
		.amdhsa_exception_fp_ieee_invalid_op 0
		.amdhsa_exception_fp_denorm_src 0
		.amdhsa_exception_fp_ieee_div_zero 0
		.amdhsa_exception_fp_ieee_overflow 0
		.amdhsa_exception_fp_ieee_underflow 0
		.amdhsa_exception_fp_ieee_inexact 0
		.amdhsa_exception_int_div_zero 0
	.end_amdhsa_kernel
	.section	.text._Z6kernelI14subtract_rightLj256ELj16ELb1EJPxS1_jEEvDpT3_,"axG",@progbits,_Z6kernelI14subtract_rightLj256ELj16ELb1EJPxS1_jEEvDpT3_,comdat
.Lfunc_end112:
	.size	_Z6kernelI14subtract_rightLj256ELj16ELb1EJPxS1_jEEvDpT3_, .Lfunc_end112-_Z6kernelI14subtract_rightLj256ELj16ELb1EJPxS1_jEEvDpT3_
                                        ; -- End function
	.section	.AMDGPU.csdata,"",@progbits
; Kernel info:
; codeLenInByte = 1144
; NumSgprs: 12
; NumVgprs: 62
; NumAgprs: 0
; TotalNumVgprs: 62
; ScratchSize: 0
; MemoryBound: 0
; FloatMode: 240
; IeeeMode: 1
; LDSByteSize: 4096 bytes/workgroup (compile time only)
; SGPRBlocks: 1
; VGPRBlocks: 7
; NumSGPRsForWavesPerEU: 12
; NumVGPRsForWavesPerEU: 62
; AccumOffset: 64
; Occupancy: 8
; WaveLimiterHint : 1
; COMPUTE_PGM_RSRC2:SCRATCH_EN: 0
; COMPUTE_PGM_RSRC2:USER_SGPR: 6
; COMPUTE_PGM_RSRC2:TRAP_HANDLER: 0
; COMPUTE_PGM_RSRC2:TGID_X_EN: 1
; COMPUTE_PGM_RSRC2:TGID_Y_EN: 0
; COMPUTE_PGM_RSRC2:TGID_Z_EN: 0
; COMPUTE_PGM_RSRC2:TIDIG_COMP_CNT: 0
; COMPUTE_PGM_RSRC3_GFX90A:ACCUM_OFFSET: 15
; COMPUTE_PGM_RSRC3_GFX90A:TG_SPLIT: 0
	.section	.text._Z6kernelI14subtract_rightLj256ELj32ELb1EJPxS1_jEEvDpT3_,"axG",@progbits,_Z6kernelI14subtract_rightLj256ELj32ELb1EJPxS1_jEEvDpT3_,comdat
	.protected	_Z6kernelI14subtract_rightLj256ELj32ELb1EJPxS1_jEEvDpT3_ ; -- Begin function _Z6kernelI14subtract_rightLj256ELj32ELb1EJPxS1_jEEvDpT3_
	.globl	_Z6kernelI14subtract_rightLj256ELj32ELb1EJPxS1_jEEvDpT3_
	.p2align	8
	.type	_Z6kernelI14subtract_rightLj256ELj32ELb1EJPxS1_jEEvDpT3_,@function
_Z6kernelI14subtract_rightLj256ELj32ELb1EJPxS1_jEEvDpT3_: ; @_Z6kernelI14subtract_rightLj256ELj32ELb1EJPxS1_jEEvDpT3_
; %bb.0:
	s_load_dwordx4 s[0:3], s[4:5], 0x0
	s_load_dword s7, s[4:5], 0x10
	s_lshl_b32 s4, s6, 13
	s_mov_b32 s5, 0
	s_lshl_b64 s[4:5], s[4:5], 3
	s_waitcnt lgkmcnt(0)
	s_add_u32 s0, s0, s4
	s_addc_u32 s1, s1, s5
	v_lshlrev_b32_e32 v66, 3, v0
	v_mov_b32_e32 v1, s1
	v_add_co_u32_e32 v52, vcc, s0, v66
	v_addc_co_u32_e32 v1, vcc, 0, v1, vcc
	s_movk_i32 s6, 0x1000
	v_add_co_u32_e32 v68, vcc, s6, v52
	v_addc_co_u32_e32 v69, vcc, 0, v1, vcc
	s_movk_i32 s6, 0x2000
	;; [unrolled: 3-line block ×6, first 2 shown]
	global_load_dwordx2 v[6:7], v[8:9], off offset:2048
	global_load_dwordx2 v[2:3], v[72:73], off
	global_load_dwordx2 v[4:5], v[72:73], off offset:2048
	v_add_co_u32_e32 v8, vcc, s6, v52
	v_addc_co_u32_e32 v9, vcc, 0, v1, vcc
	s_movk_i32 s6, 0x7000
	v_add_co_u32_e32 v38, vcc, s6, v52
	v_addc_co_u32_e32 v39, vcc, 0, v1, vcc
	s_mov_b32 s6, 0x8000
	v_add_co_u32_e32 v22, vcc, s6, v52
	v_addc_co_u32_e32 v23, vcc, 0, v1, vcc
	s_mov_b32 s6, 0x9000
	;; [unrolled: 3-line block ×6, first 2 shown]
	v_add_co_u32_e32 v74, vcc, s6, v52
	v_addc_co_u32_e32 v75, vcc, 0, v1, vcc
	v_add_co_u32_e32 v76, vcc, 0xe000, v52
	v_addc_co_u32_e32 v77, vcc, 0, v1, vcc
	v_add_co_u32_e32 v78, vcc, 0xf000, v52
	global_load_dwordx2 v[26:27], v[8:9], off offset:-4096
	global_load_dwordx2 v[12:13], v[8:9], off
	global_load_dwordx2 v[14:15], v[8:9], off offset:2048
	global_load_dwordx2 v[10:11], v[22:23], off offset:-4096
	global_load_dwordx2 v[18:19], v[22:23], off
	global_load_dwordx2 v[20:21], v[22:23], off offset:2048
	global_load_dwordx2 v[16:17], v[42:43], off offset:-4096
	s_nop 0
	global_load_dwordx2 v[8:9], v[42:43], off
	global_load_dwordx2 v[50:51], v[36:37], off offset:2048
	global_load_dwordx2 v[48:49], v[38:39], off offset:2048
	;; [unrolled: 1-line block ×5, first 2 shown]
	global_load_dwordx2 v[30:31], v[46:47], off offset:-4096
	global_load_dwordx2 v[22:23], v[46:47], off
	global_load_dwordx2 v[24:25], v[46:47], off offset:2048
	v_addc_co_u32_e32 v79, vcc, 0, v1, vcc
	global_load_dwordx2 v[44:45], v[74:75], off
	global_load_dwordx2 v[46:47], v[74:75], off offset:2048
	global_load_dwordx2 v[36:37], v[76:77], off
	global_load_dwordx2 v[38:39], v[76:77], off offset:2048
	global_load_dwordx2 v[52:53], v[72:73], off offset:-4096
	global_load_dwordx2 v[54:55], v[70:71], off offset:2048
	global_load_dwordx2 v[40:41], v[78:79], off
	global_load_dwordx2 v[56:57], v[70:71], off
	global_load_dwordx2 v[58:59], v[70:71], off offset:-4096
	global_load_dwordx2 v[42:43], v[78:79], off offset:2048
	global_load_dwordx2 v[62:63], v66, s[0:1]
	global_load_dwordx2 v[60:61], v[68:69], off offset:2048
	global_load_dwordx2 v[64:65], v66, s[0:1] offset:2048
	s_cmp_eq_u32 s7, 0
	s_cbranch_scc1 .LBB113_5
; %bb.1:
	s_movk_i32 s0, 0xff
	v_cmp_ne_u32_e32 vcc, s0, v0
	v_or_b32_e32 v67, 0x800, v66
	s_branch .LBB113_3
.LBB113_2:                              ;   in Loop: Header=BB113_3 Depth=1
	s_or_b64 exec, exec, s[0:1]
	s_waitcnt lgkmcnt(0)
	v_sub_co_u32_e64 v0, s[0:1], v42, v0
	v_subb_co_u32_e64 v1, s[0:1], v43, v1, s[0:1]
	s_waitcnt vmcnt(0)
	v_sub_co_u32_e64 v68, s[0:1], v62, v64
	v_subb_co_u32_e64 v69, s[0:1], v63, v65, s[0:1]
	v_add_co_u32_e64 v62, s[0:1], v68, v62
	v_addc_co_u32_e64 v63, s[0:1], v69, v63, s[0:1]
	v_sub_co_u32_e64 v68, s[0:1], v64, v58
	v_subb_co_u32_e64 v69, s[0:1], v65, v59, s[0:1]
	v_add_co_u32_e64 v64, s[0:1], v68, v64
	v_addc_co_u32_e64 v65, s[0:1], v69, v65, s[0:1]
	;; [unrolled: 4-line block ×31, first 2 shown]
	v_add_co_u32_e64 v42, s[0:1], v0, v42
	s_add_i32 s7, s7, -1
	v_addc_co_u32_e64 v43, s[0:1], v1, v43, s[0:1]
	s_cmp_lg_u32 s7, 0
	s_barrier
	s_cbranch_scc0 .LBB113_5
.LBB113_3:                              ; =>This Inner Loop Header: Depth=1
	v_mov_b32_e32 v0, 0x7b
	v_mov_b32_e32 v1, 0
	s_waitcnt vmcnt(2)
	ds_write_b64 v66, v[62:63] offset:2048
	s_waitcnt lgkmcnt(0)
	s_barrier
	s_and_saveexec_b64 s[0:1], vcc
	s_cbranch_execz .LBB113_2
; %bb.4:                                ;   in Loop: Header=BB113_3 Depth=1
	ds_read_b64 v[0:1], v67 offset:8
	s_branch .LBB113_2
.LBB113_5:
	s_add_u32 s0, s2, s4
	s_addc_u32 s1, s3, s5
	v_mov_b32_e32 v0, s1
	v_add_co_u32_e32 v67, vcc, s0, v66
	v_addc_co_u32_e32 v68, vcc, 0, v0, vcc
	v_add_co_u32_e32 v0, vcc, 0x1000, v67
	v_addc_co_u32_e32 v1, vcc, 0, v68, vcc
	s_waitcnt vmcnt(2)
	global_store_dwordx2 v66, v[62:63], s[0:1]
	s_waitcnt vmcnt(1)
	global_store_dwordx2 v66, v[64:65], s[0:1] offset:2048
	global_store_dwordx2 v[0:1], v[58:59], off
	global_store_dwordx2 v[0:1], v[60:61], off offset:2048
	v_add_co_u32_e32 v0, vcc, 0x2000, v67
	v_addc_co_u32_e32 v1, vcc, 0, v68, vcc
	global_store_dwordx2 v[0:1], v[56:57], off
	global_store_dwordx2 v[0:1], v[54:55], off offset:2048
	v_add_co_u32_e32 v0, vcc, 0x3000, v67
	v_addc_co_u32_e32 v1, vcc, 0, v68, vcc
	;; [unrolled: 4-line block ×14, first 2 shown]
	global_store_dwordx2 v[0:1], v[40:41], off
	global_store_dwordx2 v[0:1], v[42:43], off offset:2048
	s_endpgm
	.section	.rodata,"a",@progbits
	.p2align	6, 0x0
	.amdhsa_kernel _Z6kernelI14subtract_rightLj256ELj32ELb1EJPxS1_jEEvDpT3_
		.amdhsa_group_segment_fixed_size 4096
		.amdhsa_private_segment_fixed_size 0
		.amdhsa_kernarg_size 20
		.amdhsa_user_sgpr_count 6
		.amdhsa_user_sgpr_private_segment_buffer 1
		.amdhsa_user_sgpr_dispatch_ptr 0
		.amdhsa_user_sgpr_queue_ptr 0
		.amdhsa_user_sgpr_kernarg_segment_ptr 1
		.amdhsa_user_sgpr_dispatch_id 0
		.amdhsa_user_sgpr_flat_scratch_init 0
		.amdhsa_user_sgpr_kernarg_preload_length 0
		.amdhsa_user_sgpr_kernarg_preload_offset 0
		.amdhsa_user_sgpr_private_segment_size 0
		.amdhsa_uses_dynamic_stack 0
		.amdhsa_system_sgpr_private_segment_wavefront_offset 0
		.amdhsa_system_sgpr_workgroup_id_x 1
		.amdhsa_system_sgpr_workgroup_id_y 0
		.amdhsa_system_sgpr_workgroup_id_z 0
		.amdhsa_system_sgpr_workgroup_info 0
		.amdhsa_system_vgpr_workitem_id 0
		.amdhsa_next_free_vgpr 80
		.amdhsa_next_free_sgpr 8
		.amdhsa_accum_offset 80
		.amdhsa_reserve_vcc 1
		.amdhsa_reserve_flat_scratch 0
		.amdhsa_float_round_mode_32 0
		.amdhsa_float_round_mode_16_64 0
		.amdhsa_float_denorm_mode_32 3
		.amdhsa_float_denorm_mode_16_64 3
		.amdhsa_dx10_clamp 1
		.amdhsa_ieee_mode 1
		.amdhsa_fp16_overflow 0
		.amdhsa_tg_split 0
		.amdhsa_exception_fp_ieee_invalid_op 0
		.amdhsa_exception_fp_denorm_src 0
		.amdhsa_exception_fp_ieee_div_zero 0
		.amdhsa_exception_fp_ieee_overflow 0
		.amdhsa_exception_fp_ieee_underflow 0
		.amdhsa_exception_fp_ieee_inexact 0
		.amdhsa_exception_int_div_zero 0
	.end_amdhsa_kernel
	.section	.text._Z6kernelI14subtract_rightLj256ELj32ELb1EJPxS1_jEEvDpT3_,"axG",@progbits,_Z6kernelI14subtract_rightLj256ELj32ELb1EJPxS1_jEEvDpT3_,comdat
.Lfunc_end113:
	.size	_Z6kernelI14subtract_rightLj256ELj32ELb1EJPxS1_jEEvDpT3_, .Lfunc_end113-_Z6kernelI14subtract_rightLj256ELj32ELb1EJPxS1_jEEvDpT3_
                                        ; -- End function
	.section	.AMDGPU.csdata,"",@progbits
; Kernel info:
; codeLenInByte = 2120
; NumSgprs: 12
; NumVgprs: 80
; NumAgprs: 0
; TotalNumVgprs: 80
; ScratchSize: 0
; MemoryBound: 0
; FloatMode: 240
; IeeeMode: 1
; LDSByteSize: 4096 bytes/workgroup (compile time only)
; SGPRBlocks: 1
; VGPRBlocks: 9
; NumSGPRsForWavesPerEU: 12
; NumVGPRsForWavesPerEU: 80
; AccumOffset: 80
; Occupancy: 6
; WaveLimiterHint : 1
; COMPUTE_PGM_RSRC2:SCRATCH_EN: 0
; COMPUTE_PGM_RSRC2:USER_SGPR: 6
; COMPUTE_PGM_RSRC2:TRAP_HANDLER: 0
; COMPUTE_PGM_RSRC2:TGID_X_EN: 1
; COMPUTE_PGM_RSRC2:TGID_Y_EN: 0
; COMPUTE_PGM_RSRC2:TGID_Z_EN: 0
; COMPUTE_PGM_RSRC2:TIDIG_COMP_CNT: 0
; COMPUTE_PGM_RSRC3_GFX90A:ACCUM_OFFSET: 19
; COMPUTE_PGM_RSRC3_GFX90A:TG_SPLIT: 0
	.section	.text._Z6kernelI14subtract_rightLj256ELj1ELb1EJPdS1_jEEvDpT3_,"axG",@progbits,_Z6kernelI14subtract_rightLj256ELj1ELb1EJPdS1_jEEvDpT3_,comdat
	.protected	_Z6kernelI14subtract_rightLj256ELj1ELb1EJPdS1_jEEvDpT3_ ; -- Begin function _Z6kernelI14subtract_rightLj256ELj1ELb1EJPdS1_jEEvDpT3_
	.globl	_Z6kernelI14subtract_rightLj256ELj1ELb1EJPdS1_jEEvDpT3_
	.p2align	8
	.type	_Z6kernelI14subtract_rightLj256ELj1ELb1EJPdS1_jEEvDpT3_,@function
_Z6kernelI14subtract_rightLj256ELj1ELb1EJPdS1_jEEvDpT3_: ; @_Z6kernelI14subtract_rightLj256ELj1ELb1EJPdS1_jEEvDpT3_
; %bb.0:
	s_load_dwordx4 s[0:3], s[4:5], 0x0
	s_load_dword s7, s[4:5], 0x10
	s_lshl_b32 s4, s6, 8
	s_mov_b32 s5, 0
	s_lshl_b64 s[4:5], s[4:5], 3
	s_waitcnt lgkmcnt(0)
	s_add_u32 s0, s0, s4
	s_addc_u32 s1, s1, s5
	v_lshlrev_b32_e32 v4, 3, v0
	global_load_dwordx2 v[2:3], v4, s[0:1]
	s_cmp_eq_u32 s7, 0
	s_cbranch_scc1 .LBB114_5
; %bb.1:
	s_movk_i32 s0, 0xff
	v_cmp_ne_u32_e32 vcc, s0, v0
	v_or_b32_e32 v5, 0x800, v4
	s_branch .LBB114_3
.LBB114_2:                              ;   in Loop: Header=BB114_3 Depth=1
	s_or_b64 exec, exec, s[0:1]
	s_waitcnt lgkmcnt(0)
	v_add_f64 v[0:1], v[2:3], -v[0:1]
	s_add_i32 s7, s7, -1
	v_add_f64 v[2:3], v[2:3], v[0:1]
	s_cmp_lg_u32 s7, 0
	s_barrier
	s_cbranch_scc0 .LBB114_5
.LBB114_3:                              ; =>This Inner Loop Header: Depth=1
	v_mov_b32_e32 v0, 0
	v_mov_b32_e32 v1, 0x405ec000
	s_waitcnt vmcnt(0)
	ds_write_b64 v4, v[2:3] offset:2048
	s_waitcnt lgkmcnt(0)
	s_barrier
	s_and_saveexec_b64 s[0:1], vcc
	s_cbranch_execz .LBB114_2
; %bb.4:                                ;   in Loop: Header=BB114_3 Depth=1
	ds_read_b64 v[0:1], v5 offset:8
	s_branch .LBB114_2
.LBB114_5:
	s_add_u32 s0, s2, s4
	s_addc_u32 s1, s3, s5
	s_waitcnt vmcnt(0)
	global_store_dwordx2 v4, v[2:3], s[0:1]
	s_endpgm
	.section	.rodata,"a",@progbits
	.p2align	6, 0x0
	.amdhsa_kernel _Z6kernelI14subtract_rightLj256ELj1ELb1EJPdS1_jEEvDpT3_
		.amdhsa_group_segment_fixed_size 4096
		.amdhsa_private_segment_fixed_size 0
		.amdhsa_kernarg_size 20
		.amdhsa_user_sgpr_count 6
		.amdhsa_user_sgpr_private_segment_buffer 1
		.amdhsa_user_sgpr_dispatch_ptr 0
		.amdhsa_user_sgpr_queue_ptr 0
		.amdhsa_user_sgpr_kernarg_segment_ptr 1
		.amdhsa_user_sgpr_dispatch_id 0
		.amdhsa_user_sgpr_flat_scratch_init 0
		.amdhsa_user_sgpr_kernarg_preload_length 0
		.amdhsa_user_sgpr_kernarg_preload_offset 0
		.amdhsa_user_sgpr_private_segment_size 0
		.amdhsa_uses_dynamic_stack 0
		.amdhsa_system_sgpr_private_segment_wavefront_offset 0
		.amdhsa_system_sgpr_workgroup_id_x 1
		.amdhsa_system_sgpr_workgroup_id_y 0
		.amdhsa_system_sgpr_workgroup_id_z 0
		.amdhsa_system_sgpr_workgroup_info 0
		.amdhsa_system_vgpr_workitem_id 0
		.amdhsa_next_free_vgpr 6
		.amdhsa_next_free_sgpr 8
		.amdhsa_accum_offset 8
		.amdhsa_reserve_vcc 1
		.amdhsa_reserve_flat_scratch 0
		.amdhsa_float_round_mode_32 0
		.amdhsa_float_round_mode_16_64 0
		.amdhsa_float_denorm_mode_32 3
		.amdhsa_float_denorm_mode_16_64 3
		.amdhsa_dx10_clamp 1
		.amdhsa_ieee_mode 1
		.amdhsa_fp16_overflow 0
		.amdhsa_tg_split 0
		.amdhsa_exception_fp_ieee_invalid_op 0
		.amdhsa_exception_fp_denorm_src 0
		.amdhsa_exception_fp_ieee_div_zero 0
		.amdhsa_exception_fp_ieee_overflow 0
		.amdhsa_exception_fp_ieee_underflow 0
		.amdhsa_exception_fp_ieee_inexact 0
		.amdhsa_exception_int_div_zero 0
	.end_amdhsa_kernel
	.section	.text._Z6kernelI14subtract_rightLj256ELj1ELb1EJPdS1_jEEvDpT3_,"axG",@progbits,_Z6kernelI14subtract_rightLj256ELj1ELb1EJPdS1_jEEvDpT3_,comdat
.Lfunc_end114:
	.size	_Z6kernelI14subtract_rightLj256ELj1ELb1EJPdS1_jEEvDpT3_, .Lfunc_end114-_Z6kernelI14subtract_rightLj256ELj1ELb1EJPdS1_jEEvDpT3_
                                        ; -- End function
	.section	.AMDGPU.csdata,"",@progbits
; Kernel info:
; codeLenInByte = 196
; NumSgprs: 12
; NumVgprs: 6
; NumAgprs: 0
; TotalNumVgprs: 6
; ScratchSize: 0
; MemoryBound: 0
; FloatMode: 240
; IeeeMode: 1
; LDSByteSize: 4096 bytes/workgroup (compile time only)
; SGPRBlocks: 1
; VGPRBlocks: 0
; NumSGPRsForWavesPerEU: 12
; NumVGPRsForWavesPerEU: 6
; AccumOffset: 8
; Occupancy: 8
; WaveLimiterHint : 0
; COMPUTE_PGM_RSRC2:SCRATCH_EN: 0
; COMPUTE_PGM_RSRC2:USER_SGPR: 6
; COMPUTE_PGM_RSRC2:TRAP_HANDLER: 0
; COMPUTE_PGM_RSRC2:TGID_X_EN: 1
; COMPUTE_PGM_RSRC2:TGID_Y_EN: 0
; COMPUTE_PGM_RSRC2:TGID_Z_EN: 0
; COMPUTE_PGM_RSRC2:TIDIG_COMP_CNT: 0
; COMPUTE_PGM_RSRC3_GFX90A:ACCUM_OFFSET: 1
; COMPUTE_PGM_RSRC3_GFX90A:TG_SPLIT: 0
	.section	.text._Z6kernelI14subtract_rightLj256ELj3ELb1EJPdS1_jEEvDpT3_,"axG",@progbits,_Z6kernelI14subtract_rightLj256ELj3ELb1EJPdS1_jEEvDpT3_,comdat
	.protected	_Z6kernelI14subtract_rightLj256ELj3ELb1EJPdS1_jEEvDpT3_ ; -- Begin function _Z6kernelI14subtract_rightLj256ELj3ELb1EJPdS1_jEEvDpT3_
	.globl	_Z6kernelI14subtract_rightLj256ELj3ELb1EJPdS1_jEEvDpT3_
	.p2align	8
	.type	_Z6kernelI14subtract_rightLj256ELj3ELb1EJPdS1_jEEvDpT3_,@function
_Z6kernelI14subtract_rightLj256ELj3ELb1EJPdS1_jEEvDpT3_: ; @_Z6kernelI14subtract_rightLj256ELj3ELb1EJPdS1_jEEvDpT3_
; %bb.0:
	s_load_dwordx4 s[0:3], s[4:5], 0x0
	s_load_dword s7, s[4:5], 0x10
	s_mul_i32 s4, s6, 0x300
	s_mov_b32 s5, 0
	s_lshl_b64 s[4:5], s[4:5], 3
	s_waitcnt lgkmcnt(0)
	s_add_u32 s0, s0, s4
	s_addc_u32 s1, s1, s5
	v_lshlrev_b32_e32 v8, 3, v0
	v_mov_b32_e32 v1, s1
	v_add_co_u32_e32 v2, vcc, s0, v8
	v_addc_co_u32_e32 v1, vcc, 0, v1, vcc
	v_add_co_u32_e32 v10, vcc, 0x1000, v2
	v_addc_co_u32_e32 v11, vcc, 0, v1, vcc
	global_load_dwordx2 v[6:7], v8, s[0:1]
	global_load_dwordx2 v[4:5], v8, s[0:1] offset:2048
	global_load_dwordx2 v[2:3], v[10:11], off
	s_cmp_eq_u32 s7, 0
	s_cbranch_scc1 .LBB115_5
; %bb.1:
	s_movk_i32 s0, 0xff
	v_cmp_ne_u32_e32 vcc, s0, v0
	v_or_b32_e32 v9, 0x800, v8
	s_branch .LBB115_3
.LBB115_2:                              ;   in Loop: Header=BB115_3 Depth=1
	s_or_b64 exec, exec, s[0:1]
	s_waitcnt vmcnt(1)
	v_add_f64 v[10:11], v[6:7], -v[4:5]
	s_waitcnt vmcnt(0)
	v_add_f64 v[12:13], v[4:5], -v[2:3]
	s_waitcnt lgkmcnt(0)
	v_add_f64 v[0:1], v[2:3], -v[0:1]
	s_add_i32 s7, s7, -1
	v_add_f64 v[6:7], v[6:7], v[10:11]
	v_add_f64 v[4:5], v[4:5], v[12:13]
	;; [unrolled: 1-line block ×3, first 2 shown]
	s_cmp_lg_u32 s7, 0
	s_barrier
	s_cbranch_scc0 .LBB115_5
.LBB115_3:                              ; =>This Inner Loop Header: Depth=1
	v_mov_b32_e32 v0, 0
	v_mov_b32_e32 v1, 0x405ec000
	s_waitcnt vmcnt(2)
	ds_write_b64 v8, v[6:7] offset:2048
	s_waitcnt lgkmcnt(0)
	s_barrier
	s_and_saveexec_b64 s[0:1], vcc
	s_cbranch_execz .LBB115_2
; %bb.4:                                ;   in Loop: Header=BB115_3 Depth=1
	ds_read_b64 v[0:1], v9 offset:8
	s_branch .LBB115_2
.LBB115_5:
	s_add_u32 s0, s2, s4
	s_addc_u32 s1, s3, s5
	v_mov_b32_e32 v0, s1
	v_add_co_u32_e32 v1, vcc, s0, v8
	v_addc_co_u32_e32 v9, vcc, 0, v0, vcc
	v_add_co_u32_e32 v0, vcc, 0x1000, v1
	v_addc_co_u32_e32 v1, vcc, 0, v9, vcc
	s_waitcnt vmcnt(2)
	global_store_dwordx2 v8, v[6:7], s[0:1]
	s_waitcnt vmcnt(2)
	global_store_dwordx2 v8, v[4:5], s[0:1] offset:2048
	s_waitcnt vmcnt(2)
	global_store_dwordx2 v[0:1], v[2:3], off
	s_endpgm
	.section	.rodata,"a",@progbits
	.p2align	6, 0x0
	.amdhsa_kernel _Z6kernelI14subtract_rightLj256ELj3ELb1EJPdS1_jEEvDpT3_
		.amdhsa_group_segment_fixed_size 4096
		.amdhsa_private_segment_fixed_size 0
		.amdhsa_kernarg_size 20
		.amdhsa_user_sgpr_count 6
		.amdhsa_user_sgpr_private_segment_buffer 1
		.amdhsa_user_sgpr_dispatch_ptr 0
		.amdhsa_user_sgpr_queue_ptr 0
		.amdhsa_user_sgpr_kernarg_segment_ptr 1
		.amdhsa_user_sgpr_dispatch_id 0
		.amdhsa_user_sgpr_flat_scratch_init 0
		.amdhsa_user_sgpr_kernarg_preload_length 0
		.amdhsa_user_sgpr_kernarg_preload_offset 0
		.amdhsa_user_sgpr_private_segment_size 0
		.amdhsa_uses_dynamic_stack 0
		.amdhsa_system_sgpr_private_segment_wavefront_offset 0
		.amdhsa_system_sgpr_workgroup_id_x 1
		.amdhsa_system_sgpr_workgroup_id_y 0
		.amdhsa_system_sgpr_workgroup_id_z 0
		.amdhsa_system_sgpr_workgroup_info 0
		.amdhsa_system_vgpr_workitem_id 0
		.amdhsa_next_free_vgpr 14
		.amdhsa_next_free_sgpr 8
		.amdhsa_accum_offset 16
		.amdhsa_reserve_vcc 1
		.amdhsa_reserve_flat_scratch 0
		.amdhsa_float_round_mode_32 0
		.amdhsa_float_round_mode_16_64 0
		.amdhsa_float_denorm_mode_32 3
		.amdhsa_float_denorm_mode_16_64 3
		.amdhsa_dx10_clamp 1
		.amdhsa_ieee_mode 1
		.amdhsa_fp16_overflow 0
		.amdhsa_tg_split 0
		.amdhsa_exception_fp_ieee_invalid_op 0
		.amdhsa_exception_fp_denorm_src 0
		.amdhsa_exception_fp_ieee_div_zero 0
		.amdhsa_exception_fp_ieee_overflow 0
		.amdhsa_exception_fp_ieee_underflow 0
		.amdhsa_exception_fp_ieee_inexact 0
		.amdhsa_exception_int_div_zero 0
	.end_amdhsa_kernel
	.section	.text._Z6kernelI14subtract_rightLj256ELj3ELb1EJPdS1_jEEvDpT3_,"axG",@progbits,_Z6kernelI14subtract_rightLj256ELj3ELb1EJPdS1_jEEvDpT3_,comdat
.Lfunc_end115:
	.size	_Z6kernelI14subtract_rightLj256ELj3ELb1EJPdS1_jEEvDpT3_, .Lfunc_end115-_Z6kernelI14subtract_rightLj256ELj3ELb1EJPdS1_jEEvDpT3_
                                        ; -- End function
	.section	.AMDGPU.csdata,"",@progbits
; Kernel info:
; codeLenInByte = 328
; NumSgprs: 12
; NumVgprs: 14
; NumAgprs: 0
; TotalNumVgprs: 14
; ScratchSize: 0
; MemoryBound: 0
; FloatMode: 240
; IeeeMode: 1
; LDSByteSize: 4096 bytes/workgroup (compile time only)
; SGPRBlocks: 1
; VGPRBlocks: 1
; NumSGPRsForWavesPerEU: 12
; NumVGPRsForWavesPerEU: 14
; AccumOffset: 16
; Occupancy: 8
; WaveLimiterHint : 1
; COMPUTE_PGM_RSRC2:SCRATCH_EN: 0
; COMPUTE_PGM_RSRC2:USER_SGPR: 6
; COMPUTE_PGM_RSRC2:TRAP_HANDLER: 0
; COMPUTE_PGM_RSRC2:TGID_X_EN: 1
; COMPUTE_PGM_RSRC2:TGID_Y_EN: 0
; COMPUTE_PGM_RSRC2:TGID_Z_EN: 0
; COMPUTE_PGM_RSRC2:TIDIG_COMP_CNT: 0
; COMPUTE_PGM_RSRC3_GFX90A:ACCUM_OFFSET: 3
; COMPUTE_PGM_RSRC3_GFX90A:TG_SPLIT: 0
	.section	.text._Z6kernelI14subtract_rightLj256ELj4ELb1EJPdS1_jEEvDpT3_,"axG",@progbits,_Z6kernelI14subtract_rightLj256ELj4ELb1EJPdS1_jEEvDpT3_,comdat
	.protected	_Z6kernelI14subtract_rightLj256ELj4ELb1EJPdS1_jEEvDpT3_ ; -- Begin function _Z6kernelI14subtract_rightLj256ELj4ELb1EJPdS1_jEEvDpT3_
	.globl	_Z6kernelI14subtract_rightLj256ELj4ELb1EJPdS1_jEEvDpT3_
	.p2align	8
	.type	_Z6kernelI14subtract_rightLj256ELj4ELb1EJPdS1_jEEvDpT3_,@function
_Z6kernelI14subtract_rightLj256ELj4ELb1EJPdS1_jEEvDpT3_: ; @_Z6kernelI14subtract_rightLj256ELj4ELb1EJPdS1_jEEvDpT3_
; %bb.0:
	s_load_dwordx4 s[0:3], s[4:5], 0x0
	s_load_dword s7, s[4:5], 0x10
	s_lshl_b32 s4, s6, 10
	s_mov_b32 s5, 0
	s_lshl_b64 s[4:5], s[4:5], 3
	s_waitcnt lgkmcnt(0)
	s_add_u32 s0, s0, s4
	s_addc_u32 s1, s1, s5
	v_lshlrev_b32_e32 v10, 3, v0
	v_mov_b32_e32 v1, s1
	v_add_co_u32_e32 v2, vcc, s0, v10
	v_addc_co_u32_e32 v1, vcc, 0, v1, vcc
	v_add_co_u32_e32 v12, vcc, 0x1000, v2
	v_addc_co_u32_e32 v13, vcc, 0, v1, vcc
	global_load_dwordx2 v[8:9], v10, s[0:1]
	global_load_dwordx2 v[6:7], v10, s[0:1] offset:2048
	global_load_dwordx2 v[4:5], v[12:13], off
	global_load_dwordx2 v[2:3], v[12:13], off offset:2048
	s_cmp_eq_u32 s7, 0
	s_cbranch_scc1 .LBB116_5
; %bb.1:
	s_movk_i32 s0, 0xff
	v_cmp_ne_u32_e32 vcc, s0, v0
	v_or_b32_e32 v11, 0x800, v10
	s_branch .LBB116_3
.LBB116_2:                              ;   in Loop: Header=BB116_3 Depth=1
	s_or_b64 exec, exec, s[0:1]
	s_waitcnt vmcnt(2)
	v_add_f64 v[12:13], v[8:9], -v[6:7]
	s_waitcnt vmcnt(1)
	v_add_f64 v[14:15], v[6:7], -v[4:5]
	;; [unrolled: 2-line block ×3, first 2 shown]
	s_waitcnt lgkmcnt(0)
	v_add_f64 v[0:1], v[2:3], -v[0:1]
	s_add_i32 s7, s7, -1
	v_add_f64 v[8:9], v[8:9], v[12:13]
	v_add_f64 v[6:7], v[6:7], v[14:15]
	;; [unrolled: 1-line block ×4, first 2 shown]
	s_cmp_lg_u32 s7, 0
	s_barrier
	s_cbranch_scc0 .LBB116_5
.LBB116_3:                              ; =>This Inner Loop Header: Depth=1
	v_mov_b32_e32 v0, 0
	v_mov_b32_e32 v1, 0x405ec000
	s_waitcnt vmcnt(3)
	ds_write_b64 v10, v[8:9] offset:2048
	s_waitcnt lgkmcnt(0)
	s_barrier
	s_and_saveexec_b64 s[0:1], vcc
	s_cbranch_execz .LBB116_2
; %bb.4:                                ;   in Loop: Header=BB116_3 Depth=1
	ds_read_b64 v[0:1], v11 offset:8
	s_branch .LBB116_2
.LBB116_5:
	s_add_u32 s0, s2, s4
	s_addc_u32 s1, s3, s5
	v_mov_b32_e32 v0, s1
	v_add_co_u32_e32 v1, vcc, s0, v10
	v_addc_co_u32_e32 v11, vcc, 0, v0, vcc
	v_add_co_u32_e32 v0, vcc, 0x1000, v1
	v_addc_co_u32_e32 v1, vcc, 0, v11, vcc
	s_waitcnt vmcnt(3)
	global_store_dwordx2 v10, v[8:9], s[0:1]
	s_waitcnt vmcnt(3)
	global_store_dwordx2 v10, v[6:7], s[0:1] offset:2048
	s_waitcnt vmcnt(3)
	global_store_dwordx2 v[0:1], v[4:5], off
	s_waitcnt vmcnt(3)
	global_store_dwordx2 v[0:1], v[2:3], off offset:2048
	s_endpgm
	.section	.rodata,"a",@progbits
	.p2align	6, 0x0
	.amdhsa_kernel _Z6kernelI14subtract_rightLj256ELj4ELb1EJPdS1_jEEvDpT3_
		.amdhsa_group_segment_fixed_size 4096
		.amdhsa_private_segment_fixed_size 0
		.amdhsa_kernarg_size 20
		.amdhsa_user_sgpr_count 6
		.amdhsa_user_sgpr_private_segment_buffer 1
		.amdhsa_user_sgpr_dispatch_ptr 0
		.amdhsa_user_sgpr_queue_ptr 0
		.amdhsa_user_sgpr_kernarg_segment_ptr 1
		.amdhsa_user_sgpr_dispatch_id 0
		.amdhsa_user_sgpr_flat_scratch_init 0
		.amdhsa_user_sgpr_kernarg_preload_length 0
		.amdhsa_user_sgpr_kernarg_preload_offset 0
		.amdhsa_user_sgpr_private_segment_size 0
		.amdhsa_uses_dynamic_stack 0
		.amdhsa_system_sgpr_private_segment_wavefront_offset 0
		.amdhsa_system_sgpr_workgroup_id_x 1
		.amdhsa_system_sgpr_workgroup_id_y 0
		.amdhsa_system_sgpr_workgroup_id_z 0
		.amdhsa_system_sgpr_workgroup_info 0
		.amdhsa_system_vgpr_workitem_id 0
		.amdhsa_next_free_vgpr 18
		.amdhsa_next_free_sgpr 8
		.amdhsa_accum_offset 20
		.amdhsa_reserve_vcc 1
		.amdhsa_reserve_flat_scratch 0
		.amdhsa_float_round_mode_32 0
		.amdhsa_float_round_mode_16_64 0
		.amdhsa_float_denorm_mode_32 3
		.amdhsa_float_denorm_mode_16_64 3
		.amdhsa_dx10_clamp 1
		.amdhsa_ieee_mode 1
		.amdhsa_fp16_overflow 0
		.amdhsa_tg_split 0
		.amdhsa_exception_fp_ieee_invalid_op 0
		.amdhsa_exception_fp_denorm_src 0
		.amdhsa_exception_fp_ieee_div_zero 0
		.amdhsa_exception_fp_ieee_overflow 0
		.amdhsa_exception_fp_ieee_underflow 0
		.amdhsa_exception_fp_ieee_inexact 0
		.amdhsa_exception_int_div_zero 0
	.end_amdhsa_kernel
	.section	.text._Z6kernelI14subtract_rightLj256ELj4ELb1EJPdS1_jEEvDpT3_,"axG",@progbits,_Z6kernelI14subtract_rightLj256ELj4ELb1EJPdS1_jEEvDpT3_,comdat
.Lfunc_end116:
	.size	_Z6kernelI14subtract_rightLj256ELj4ELb1EJPdS1_jEEvDpT3_, .Lfunc_end116-_Z6kernelI14subtract_rightLj256ELj4ELb1EJPdS1_jEEvDpT3_
                                        ; -- End function
	.section	.AMDGPU.csdata,"",@progbits
; Kernel info:
; codeLenInByte = 364
; NumSgprs: 12
; NumVgprs: 18
; NumAgprs: 0
; TotalNumVgprs: 18
; ScratchSize: 0
; MemoryBound: 0
; FloatMode: 240
; IeeeMode: 1
; LDSByteSize: 4096 bytes/workgroup (compile time only)
; SGPRBlocks: 1
; VGPRBlocks: 2
; NumSGPRsForWavesPerEU: 12
; NumVGPRsForWavesPerEU: 18
; AccumOffset: 20
; Occupancy: 8
; WaveLimiterHint : 1
; COMPUTE_PGM_RSRC2:SCRATCH_EN: 0
; COMPUTE_PGM_RSRC2:USER_SGPR: 6
; COMPUTE_PGM_RSRC2:TRAP_HANDLER: 0
; COMPUTE_PGM_RSRC2:TGID_X_EN: 1
; COMPUTE_PGM_RSRC2:TGID_Y_EN: 0
; COMPUTE_PGM_RSRC2:TGID_Z_EN: 0
; COMPUTE_PGM_RSRC2:TIDIG_COMP_CNT: 0
; COMPUTE_PGM_RSRC3_GFX90A:ACCUM_OFFSET: 4
; COMPUTE_PGM_RSRC3_GFX90A:TG_SPLIT: 0
	.section	.text._Z6kernelI14subtract_rightLj256ELj8ELb1EJPdS1_jEEvDpT3_,"axG",@progbits,_Z6kernelI14subtract_rightLj256ELj8ELb1EJPdS1_jEEvDpT3_,comdat
	.protected	_Z6kernelI14subtract_rightLj256ELj8ELb1EJPdS1_jEEvDpT3_ ; -- Begin function _Z6kernelI14subtract_rightLj256ELj8ELb1EJPdS1_jEEvDpT3_
	.globl	_Z6kernelI14subtract_rightLj256ELj8ELb1EJPdS1_jEEvDpT3_
	.p2align	8
	.type	_Z6kernelI14subtract_rightLj256ELj8ELb1EJPdS1_jEEvDpT3_,@function
_Z6kernelI14subtract_rightLj256ELj8ELb1EJPdS1_jEEvDpT3_: ; @_Z6kernelI14subtract_rightLj256ELj8ELb1EJPdS1_jEEvDpT3_
; %bb.0:
	s_load_dwordx4 s[0:3], s[4:5], 0x0
	s_load_dword s7, s[4:5], 0x10
	s_lshl_b32 s4, s6, 11
	s_mov_b32 s5, 0
	s_lshl_b64 s[4:5], s[4:5], 3
	s_waitcnt lgkmcnt(0)
	s_add_u32 s0, s0, s4
	s_addc_u32 s1, s1, s5
	v_lshlrev_b32_e32 v18, 3, v0
	v_mov_b32_e32 v1, s1
	v_add_co_u32_e32 v12, vcc, s0, v18
	v_addc_co_u32_e32 v1, vcc, 0, v1, vcc
	s_movk_i32 s6, 0x1000
	v_add_co_u32_e32 v10, vcc, s6, v12
	v_addc_co_u32_e32 v11, vcc, 0, v1, vcc
	v_add_co_u32_e32 v20, vcc, 0x2000, v12
	v_addc_co_u32_e32 v21, vcc, 0, v1, vcc
	v_add_co_u32_e32 v22, vcc, 0x3000, v12
	global_load_dwordx2 v[8:9], v18, s[0:1]
	global_load_dwordx2 v[6:7], v18, s[0:1] offset:2048
	global_load_dwordx2 v[4:5], v[10:11], off
	global_load_dwordx2 v[2:3], v[10:11], off offset:2048
	v_addc_co_u32_e32 v23, vcc, 0, v1, vcc
	global_load_dwordx2 v[16:17], v[20:21], off
	global_load_dwordx2 v[14:15], v[20:21], off offset:2048
	global_load_dwordx2 v[12:13], v[22:23], off
	global_load_dwordx2 v[10:11], v[22:23], off offset:2048
	s_cmp_eq_u32 s7, 0
	s_cbranch_scc1 .LBB117_5
; %bb.1:
	s_movk_i32 s0, 0xff
	v_cmp_ne_u32_e32 vcc, s0, v0
	v_or_b32_e32 v19, 0x800, v18
	s_branch .LBB117_3
.LBB117_2:                              ;   in Loop: Header=BB117_3 Depth=1
	s_or_b64 exec, exec, s[0:1]
	s_waitcnt vmcnt(6)
	v_add_f64 v[20:21], v[8:9], -v[6:7]
	s_waitcnt vmcnt(5)
	v_add_f64 v[22:23], v[6:7], -v[4:5]
	s_waitcnt vmcnt(4)
	v_add_f64 v[24:25], v[4:5], -v[2:3]
	s_waitcnt vmcnt(3)
	v_add_f64 v[26:27], v[2:3], -v[16:17]
	s_waitcnt vmcnt(2)
	v_add_f64 v[28:29], v[16:17], -v[14:15]
	s_waitcnt vmcnt(1)
	v_add_f64 v[30:31], v[14:15], -v[12:13]
	s_waitcnt vmcnt(0)
	v_add_f64 v[32:33], v[12:13], -v[10:11]
	s_waitcnt lgkmcnt(0)
	v_add_f64 v[0:1], v[10:11], -v[0:1]
	s_add_i32 s7, s7, -1
	v_add_f64 v[8:9], v[8:9], v[20:21]
	v_add_f64 v[6:7], v[6:7], v[22:23]
	;; [unrolled: 1-line block ×8, first 2 shown]
	s_cmp_lg_u32 s7, 0
	s_barrier
	s_cbranch_scc0 .LBB117_5
.LBB117_3:                              ; =>This Inner Loop Header: Depth=1
	v_mov_b32_e32 v0, 0
	v_mov_b32_e32 v1, 0x405ec000
	s_waitcnt vmcnt(7)
	ds_write_b64 v18, v[8:9] offset:2048
	s_waitcnt lgkmcnt(0)
	s_barrier
	s_and_saveexec_b64 s[0:1], vcc
	s_cbranch_execz .LBB117_2
; %bb.4:                                ;   in Loop: Header=BB117_3 Depth=1
	ds_read_b64 v[0:1], v19 offset:8
	s_branch .LBB117_2
.LBB117_5:
	s_add_u32 s0, s2, s4
	s_addc_u32 s1, s3, s5
	v_mov_b32_e32 v0, s1
	v_add_co_u32_e32 v19, vcc, s0, v18
	v_addc_co_u32_e32 v20, vcc, 0, v0, vcc
	v_add_co_u32_e32 v0, vcc, 0x1000, v19
	v_addc_co_u32_e32 v1, vcc, 0, v20, vcc
	s_waitcnt vmcnt(7)
	global_store_dwordx2 v18, v[8:9], s[0:1]
	s_waitcnt vmcnt(7)
	global_store_dwordx2 v18, v[6:7], s[0:1] offset:2048
	s_waitcnt vmcnt(7)
	global_store_dwordx2 v[0:1], v[4:5], off
	s_waitcnt vmcnt(7)
	global_store_dwordx2 v[0:1], v[2:3], off offset:2048
	v_add_co_u32_e32 v0, vcc, 0x2000, v19
	v_addc_co_u32_e32 v1, vcc, 0, v20, vcc
	s_waitcnt vmcnt(7)
	global_store_dwordx2 v[0:1], v[16:17], off
	s_waitcnt vmcnt(7)
	global_store_dwordx2 v[0:1], v[14:15], off offset:2048
	v_add_co_u32_e32 v0, vcc, 0x3000, v19
	v_addc_co_u32_e32 v1, vcc, 0, v20, vcc
	s_waitcnt vmcnt(7)
	global_store_dwordx2 v[0:1], v[12:13], off
	s_waitcnt vmcnt(7)
	global_store_dwordx2 v[0:1], v[10:11], off offset:2048
	s_endpgm
	.section	.rodata,"a",@progbits
	.p2align	6, 0x0
	.amdhsa_kernel _Z6kernelI14subtract_rightLj256ELj8ELb1EJPdS1_jEEvDpT3_
		.amdhsa_group_segment_fixed_size 4096
		.amdhsa_private_segment_fixed_size 0
		.amdhsa_kernarg_size 20
		.amdhsa_user_sgpr_count 6
		.amdhsa_user_sgpr_private_segment_buffer 1
		.amdhsa_user_sgpr_dispatch_ptr 0
		.amdhsa_user_sgpr_queue_ptr 0
		.amdhsa_user_sgpr_kernarg_segment_ptr 1
		.amdhsa_user_sgpr_dispatch_id 0
		.amdhsa_user_sgpr_flat_scratch_init 0
		.amdhsa_user_sgpr_kernarg_preload_length 0
		.amdhsa_user_sgpr_kernarg_preload_offset 0
		.amdhsa_user_sgpr_private_segment_size 0
		.amdhsa_uses_dynamic_stack 0
		.amdhsa_system_sgpr_private_segment_wavefront_offset 0
		.amdhsa_system_sgpr_workgroup_id_x 1
		.amdhsa_system_sgpr_workgroup_id_y 0
		.amdhsa_system_sgpr_workgroup_id_z 0
		.amdhsa_system_sgpr_workgroup_info 0
		.amdhsa_system_vgpr_workitem_id 0
		.amdhsa_next_free_vgpr 34
		.amdhsa_next_free_sgpr 8
		.amdhsa_accum_offset 36
		.amdhsa_reserve_vcc 1
		.amdhsa_reserve_flat_scratch 0
		.amdhsa_float_round_mode_32 0
		.amdhsa_float_round_mode_16_64 0
		.amdhsa_float_denorm_mode_32 3
		.amdhsa_float_denorm_mode_16_64 3
		.amdhsa_dx10_clamp 1
		.amdhsa_ieee_mode 1
		.amdhsa_fp16_overflow 0
		.amdhsa_tg_split 0
		.amdhsa_exception_fp_ieee_invalid_op 0
		.amdhsa_exception_fp_denorm_src 0
		.amdhsa_exception_fp_ieee_div_zero 0
		.amdhsa_exception_fp_ieee_overflow 0
		.amdhsa_exception_fp_ieee_underflow 0
		.amdhsa_exception_fp_ieee_inexact 0
		.amdhsa_exception_int_div_zero 0
	.end_amdhsa_kernel
	.section	.text._Z6kernelI14subtract_rightLj256ELj8ELb1EJPdS1_jEEvDpT3_,"axG",@progbits,_Z6kernelI14subtract_rightLj256ELj8ELb1EJPdS1_jEEvDpT3_,comdat
.Lfunc_end117:
	.size	_Z6kernelI14subtract_rightLj256ELj8ELb1EJPdS1_jEEvDpT3_, .Lfunc_end117-_Z6kernelI14subtract_rightLj256ELj8ELb1EJPdS1_jEEvDpT3_
                                        ; -- End function
	.section	.AMDGPU.csdata,"",@progbits
; Kernel info:
; codeLenInByte = 572
; NumSgprs: 12
; NumVgprs: 34
; NumAgprs: 0
; TotalNumVgprs: 34
; ScratchSize: 0
; MemoryBound: 0
; FloatMode: 240
; IeeeMode: 1
; LDSByteSize: 4096 bytes/workgroup (compile time only)
; SGPRBlocks: 1
; VGPRBlocks: 4
; NumSGPRsForWavesPerEU: 12
; NumVGPRsForWavesPerEU: 34
; AccumOffset: 36
; Occupancy: 8
; WaveLimiterHint : 1
; COMPUTE_PGM_RSRC2:SCRATCH_EN: 0
; COMPUTE_PGM_RSRC2:USER_SGPR: 6
; COMPUTE_PGM_RSRC2:TRAP_HANDLER: 0
; COMPUTE_PGM_RSRC2:TGID_X_EN: 1
; COMPUTE_PGM_RSRC2:TGID_Y_EN: 0
; COMPUTE_PGM_RSRC2:TGID_Z_EN: 0
; COMPUTE_PGM_RSRC2:TIDIG_COMP_CNT: 0
; COMPUTE_PGM_RSRC3_GFX90A:ACCUM_OFFSET: 8
; COMPUTE_PGM_RSRC3_GFX90A:TG_SPLIT: 0
	.section	.text._Z6kernelI14subtract_rightLj256ELj16ELb1EJPdS1_jEEvDpT3_,"axG",@progbits,_Z6kernelI14subtract_rightLj256ELj16ELb1EJPdS1_jEEvDpT3_,comdat
	.protected	_Z6kernelI14subtract_rightLj256ELj16ELb1EJPdS1_jEEvDpT3_ ; -- Begin function _Z6kernelI14subtract_rightLj256ELj16ELb1EJPdS1_jEEvDpT3_
	.globl	_Z6kernelI14subtract_rightLj256ELj16ELb1EJPdS1_jEEvDpT3_
	.p2align	8
	.type	_Z6kernelI14subtract_rightLj256ELj16ELb1EJPdS1_jEEvDpT3_,@function
_Z6kernelI14subtract_rightLj256ELj16ELb1EJPdS1_jEEvDpT3_: ; @_Z6kernelI14subtract_rightLj256ELj16ELb1EJPdS1_jEEvDpT3_
; %bb.0:
	s_load_dwordx4 s[0:3], s[4:5], 0x0
	s_load_dword s7, s[4:5], 0x10
	s_lshl_b32 s4, s6, 12
	s_mov_b32 s5, 0
	s_lshl_b64 s[4:5], s[4:5], 3
	s_waitcnt lgkmcnt(0)
	s_add_u32 s0, s0, s4
	s_addc_u32 s1, s1, s5
	v_lshlrev_b32_e32 v34, 3, v0
	v_mov_b32_e32 v1, s1
	v_add_co_u32_e32 v32, vcc, s0, v34
	v_addc_co_u32_e32 v1, vcc, 0, v1, vcc
	s_movk_i32 s6, 0x1000
	v_add_co_u32_e32 v12, vcc, s6, v32
	v_addc_co_u32_e32 v13, vcc, 0, v1, vcc
	s_movk_i32 s6, 0x2000
	;; [unrolled: 3-line block ×4, first 2 shown]
	v_add_co_u32_e32 v16, vcc, s6, v32
	global_load_dwordx2 v[2:3], v[36:37], off
	v_addc_co_u32_e32 v17, vcc, 0, v1, vcc
	global_load_dwordx2 v[30:31], v34, s[0:1]
	global_load_dwordx2 v[28:29], v34, s[0:1] offset:2048
	global_load_dwordx2 v[26:27], v[12:13], off offset:2048
	global_load_dwordx2 v[8:9], v[14:15], off offset:2048
	global_load_dwordx2 v[24:25], v[36:37], off offset:2048
	global_load_dwordx2 v[10:11], v[16:17], off offset:-4096
	global_load_dwordx2 v[6:7], v[16:17], off
	global_load_dwordx2 v[4:5], v[16:17], off offset:2048
	s_movk_i32 s0, 0x5000
	v_add_co_u32_e32 v16, vcc, s0, v32
	v_addc_co_u32_e32 v17, vcc, 0, v1, vcc
	v_add_co_u32_e32 v18, vcc, 0x6000, v32
	v_addc_co_u32_e32 v19, vcc, 0, v1, vcc
	v_add_co_u32_e32 v38, vcc, 0x7000, v32
	global_load_dwordx2 v[22:23], v[16:17], off
	global_load_dwordx2 v[20:21], v[16:17], off offset:2048
	global_load_dwordx2 v[14:15], v[18:19], off
	global_load_dwordx2 v[12:13], v[18:19], off offset:2048
	v_addc_co_u32_e32 v39, vcc, 0, v1, vcc
	global_load_dwordx2 v[16:17], v[38:39], off
	global_load_dwordx2 v[32:33], v[36:37], off offset:-4096
	global_load_dwordx2 v[18:19], v[38:39], off offset:2048
	s_cmp_eq_u32 s7, 0
	s_cbranch_scc1 .LBB118_5
; %bb.1:
	s_movk_i32 s0, 0xff
	v_cmp_ne_u32_e32 vcc, s0, v0
	v_or_b32_e32 v35, 0x800, v34
	s_branch .LBB118_3
.LBB118_2:                              ;   in Loop: Header=BB118_3 Depth=1
	s_or_b64 exec, exec, s[0:1]
	s_waitcnt vmcnt(13)
	v_add_f64 v[36:37], v[30:31], -v[28:29]
	s_waitcnt vmcnt(1)
	v_add_f64 v[38:39], v[28:29], -v[32:33]
	v_add_f64 v[40:41], v[32:33], -v[26:27]
	;; [unrolled: 1-line block ×12, first 2 shown]
	v_add_f64 v[30:31], v[30:31], v[36:37]
	v_add_f64 v[36:37], v[12:13], -v[16:17]
	v_add_f64 v[28:29], v[28:29], v[38:39]
	s_waitcnt vmcnt(0)
	v_add_f64 v[38:39], v[16:17], -v[18:19]
	s_waitcnt lgkmcnt(0)
	v_add_f64 v[0:1], v[18:19], -v[0:1]
	s_add_i32 s7, s7, -1
	v_add_f64 v[32:33], v[32:33], v[40:41]
	v_add_f64 v[26:27], v[26:27], v[42:43]
	;; [unrolled: 1-line block ×14, first 2 shown]
	s_cmp_lg_u32 s7, 0
	s_barrier
	s_cbranch_scc0 .LBB118_5
.LBB118_3:                              ; =>This Inner Loop Header: Depth=1
	v_mov_b32_e32 v0, 0
	v_mov_b32_e32 v1, 0x405ec000
	s_waitcnt vmcnt(14)
	ds_write_b64 v34, v[30:31] offset:2048
	s_waitcnt lgkmcnt(0)
	s_barrier
	s_and_saveexec_b64 s[0:1], vcc
	s_cbranch_execz .LBB118_2
; %bb.4:                                ;   in Loop: Header=BB118_3 Depth=1
	ds_read_b64 v[0:1], v35 offset:8
	s_branch .LBB118_2
.LBB118_5:
	s_add_u32 s0, s2, s4
	s_addc_u32 s1, s3, s5
	v_mov_b32_e32 v0, s1
	v_add_co_u32_e32 v35, vcc, s0, v34
	v_addc_co_u32_e32 v36, vcc, 0, v0, vcc
	v_add_co_u32_e32 v0, vcc, 0x1000, v35
	v_addc_co_u32_e32 v1, vcc, 0, v36, vcc
	s_waitcnt vmcnt(14)
	global_store_dwordx2 v34, v[30:31], s[0:1]
	s_waitcnt vmcnt(14)
	global_store_dwordx2 v34, v[28:29], s[0:1] offset:2048
	s_waitcnt vmcnt(3)
	global_store_dwordx2 v[0:1], v[32:33], off
	global_store_dwordx2 v[0:1], v[26:27], off offset:2048
	v_add_co_u32_e32 v0, vcc, 0x2000, v35
	v_addc_co_u32_e32 v1, vcc, 0, v36, vcc
	global_store_dwordx2 v[0:1], v[2:3], off
	global_store_dwordx2 v[0:1], v[24:25], off offset:2048
	v_add_co_u32_e32 v0, vcc, 0x3000, v35
	v_addc_co_u32_e32 v1, vcc, 0, v36, vcc
	;; [unrolled: 4-line block ×6, first 2 shown]
	global_store_dwordx2 v[0:1], v[16:17], off
	s_waitcnt vmcnt(15)
	global_store_dwordx2 v[0:1], v[18:19], off offset:2048
	s_endpgm
	.section	.rodata,"a",@progbits
	.p2align	6, 0x0
	.amdhsa_kernel _Z6kernelI14subtract_rightLj256ELj16ELb1EJPdS1_jEEvDpT3_
		.amdhsa_group_segment_fixed_size 4096
		.amdhsa_private_segment_fixed_size 0
		.amdhsa_kernarg_size 20
		.amdhsa_user_sgpr_count 6
		.amdhsa_user_sgpr_private_segment_buffer 1
		.amdhsa_user_sgpr_dispatch_ptr 0
		.amdhsa_user_sgpr_queue_ptr 0
		.amdhsa_user_sgpr_kernarg_segment_ptr 1
		.amdhsa_user_sgpr_dispatch_id 0
		.amdhsa_user_sgpr_flat_scratch_init 0
		.amdhsa_user_sgpr_kernarg_preload_length 0
		.amdhsa_user_sgpr_kernarg_preload_offset 0
		.amdhsa_user_sgpr_private_segment_size 0
		.amdhsa_uses_dynamic_stack 0
		.amdhsa_system_sgpr_private_segment_wavefront_offset 0
		.amdhsa_system_sgpr_workgroup_id_x 1
		.amdhsa_system_sgpr_workgroup_id_y 0
		.amdhsa_system_sgpr_workgroup_id_z 0
		.amdhsa_system_sgpr_workgroup_info 0
		.amdhsa_system_vgpr_workitem_id 0
		.amdhsa_next_free_vgpr 62
		.amdhsa_next_free_sgpr 8
		.amdhsa_accum_offset 64
		.amdhsa_reserve_vcc 1
		.amdhsa_reserve_flat_scratch 0
		.amdhsa_float_round_mode_32 0
		.amdhsa_float_round_mode_16_64 0
		.amdhsa_float_denorm_mode_32 3
		.amdhsa_float_denorm_mode_16_64 3
		.amdhsa_dx10_clamp 1
		.amdhsa_ieee_mode 1
		.amdhsa_fp16_overflow 0
		.amdhsa_tg_split 0
		.amdhsa_exception_fp_ieee_invalid_op 0
		.amdhsa_exception_fp_denorm_src 0
		.amdhsa_exception_fp_ieee_div_zero 0
		.amdhsa_exception_fp_ieee_overflow 0
		.amdhsa_exception_fp_ieee_underflow 0
		.amdhsa_exception_fp_ieee_inexact 0
		.amdhsa_exception_int_div_zero 0
	.end_amdhsa_kernel
	.section	.text._Z6kernelI14subtract_rightLj256ELj16ELb1EJPdS1_jEEvDpT3_,"axG",@progbits,_Z6kernelI14subtract_rightLj256ELj16ELb1EJPdS1_jEEvDpT3_,comdat
.Lfunc_end118:
	.size	_Z6kernelI14subtract_rightLj256ELj16ELb1EJPdS1_jEEvDpT3_, .Lfunc_end118-_Z6kernelI14subtract_rightLj256ELj16ELb1EJPdS1_jEEvDpT3_
                                        ; -- End function
	.section	.AMDGPU.csdata,"",@progbits
; Kernel info:
; codeLenInByte = 892
; NumSgprs: 12
; NumVgprs: 62
; NumAgprs: 0
; TotalNumVgprs: 62
; ScratchSize: 0
; MemoryBound: 0
; FloatMode: 240
; IeeeMode: 1
; LDSByteSize: 4096 bytes/workgroup (compile time only)
; SGPRBlocks: 1
; VGPRBlocks: 7
; NumSGPRsForWavesPerEU: 12
; NumVGPRsForWavesPerEU: 62
; AccumOffset: 64
; Occupancy: 8
; WaveLimiterHint : 1
; COMPUTE_PGM_RSRC2:SCRATCH_EN: 0
; COMPUTE_PGM_RSRC2:USER_SGPR: 6
; COMPUTE_PGM_RSRC2:TRAP_HANDLER: 0
; COMPUTE_PGM_RSRC2:TGID_X_EN: 1
; COMPUTE_PGM_RSRC2:TGID_Y_EN: 0
; COMPUTE_PGM_RSRC2:TGID_Z_EN: 0
; COMPUTE_PGM_RSRC2:TIDIG_COMP_CNT: 0
; COMPUTE_PGM_RSRC3_GFX90A:ACCUM_OFFSET: 15
; COMPUTE_PGM_RSRC3_GFX90A:TG_SPLIT: 0
	.section	.text._Z6kernelI14subtract_rightLj256ELj32ELb1EJPdS1_jEEvDpT3_,"axG",@progbits,_Z6kernelI14subtract_rightLj256ELj32ELb1EJPdS1_jEEvDpT3_,comdat
	.protected	_Z6kernelI14subtract_rightLj256ELj32ELb1EJPdS1_jEEvDpT3_ ; -- Begin function _Z6kernelI14subtract_rightLj256ELj32ELb1EJPdS1_jEEvDpT3_
	.globl	_Z6kernelI14subtract_rightLj256ELj32ELb1EJPdS1_jEEvDpT3_
	.p2align	8
	.type	_Z6kernelI14subtract_rightLj256ELj32ELb1EJPdS1_jEEvDpT3_,@function
_Z6kernelI14subtract_rightLj256ELj32ELb1EJPdS1_jEEvDpT3_: ; @_Z6kernelI14subtract_rightLj256ELj32ELb1EJPdS1_jEEvDpT3_
; %bb.0:
	s_load_dwordx4 s[0:3], s[4:5], 0x0
	s_load_dword s7, s[4:5], 0x10
	s_lshl_b32 s4, s6, 13
	s_mov_b32 s5, 0
	s_lshl_b64 s[4:5], s[4:5], 3
	s_waitcnt lgkmcnt(0)
	s_add_u32 s0, s0, s4
	s_addc_u32 s1, s1, s5
	v_lshlrev_b32_e32 v66, 3, v0
	v_mov_b32_e32 v1, s1
	v_add_co_u32_e32 v52, vcc, s0, v66
	v_addc_co_u32_e32 v1, vcc, 0, v1, vcc
	s_movk_i32 s6, 0x1000
	v_add_co_u32_e32 v68, vcc, s6, v52
	v_addc_co_u32_e32 v69, vcc, 0, v1, vcc
	s_movk_i32 s6, 0x2000
	v_add_co_u32_e32 v70, vcc, s6, v52
	v_addc_co_u32_e32 v71, vcc, 0, v1, vcc
	s_movk_i32 s6, 0x3000
	v_add_co_u32_e32 v8, vcc, s6, v52
	v_addc_co_u32_e32 v9, vcc, 0, v1, vcc
	s_movk_i32 s6, 0x4000
	v_add_co_u32_e32 v72, vcc, s6, v52
	v_addc_co_u32_e32 v73, vcc, 0, v1, vcc
	s_movk_i32 s6, 0x5000
	v_add_co_u32_e32 v36, vcc, s6, v52
	v_addc_co_u32_e32 v37, vcc, 0, v1, vcc
	s_movk_i32 s6, 0x6000
	global_load_dwordx2 v[6:7], v[8:9], off offset:2048
	global_load_dwordx2 v[4:5], v[72:73], off
	global_load_dwordx2 v[2:3], v[72:73], off offset:2048
	v_add_co_u32_e32 v8, vcc, s6, v52
	v_addc_co_u32_e32 v9, vcc, 0, v1, vcc
	s_movk_i32 s6, 0x7000
	v_add_co_u32_e32 v38, vcc, s6, v52
	v_addc_co_u32_e32 v39, vcc, 0, v1, vcc
	s_mov_b32 s6, 0x8000
	v_add_co_u32_e32 v18, vcc, s6, v52
	v_addc_co_u32_e32 v19, vcc, 0, v1, vcc
	s_mov_b32 s6, 0x9000
	;; [unrolled: 3-line block ×6, first 2 shown]
	v_add_co_u32_e32 v74, vcc, s6, v52
	v_addc_co_u32_e32 v75, vcc, 0, v1, vcc
	v_add_co_u32_e32 v76, vcc, 0xe000, v52
	v_addc_co_u32_e32 v77, vcc, 0, v1, vcc
	v_add_co_u32_e32 v78, vcc, 0xf000, v52
	global_load_dwordx2 v[28:29], v[8:9], off offset:-4096
	global_load_dwordx2 v[16:17], v[8:9], off
	global_load_dwordx2 v[14:15], v[8:9], off offset:2048
	global_load_dwordx2 v[10:11], v[18:19], off offset:-4096
	global_load_dwordx2 v[24:25], v[18:19], off
	global_load_dwordx2 v[22:23], v[18:19], off offset:2048
	global_load_dwordx2 v[12:13], v[42:43], off offset:-4096
	s_nop 0
	global_load_dwordx2 v[8:9], v[42:43], off
	global_load_dwordx2 v[50:51], v[36:37], off offset:2048
	global_load_dwordx2 v[48:49], v[38:39], off offset:2048
	;; [unrolled: 1-line block ×5, first 2 shown]
	global_load_dwordx2 v[30:31], v[46:47], off offset:-4096
	global_load_dwordx2 v[20:21], v[46:47], off
	global_load_dwordx2 v[18:19], v[46:47], off offset:2048
	v_addc_co_u32_e32 v79, vcc, 0, v1, vcc
	global_load_dwordx2 v[46:47], v[74:75], off
	global_load_dwordx2 v[44:45], v[74:75], off offset:2048
	global_load_dwordx2 v[38:39], v[76:77], off
	global_load_dwordx2 v[36:37], v[76:77], off offset:2048
	global_load_dwordx2 v[52:53], v[72:73], off offset:-4096
	global_load_dwordx2 v[54:55], v[70:71], off offset:2048
	global_load_dwordx2 v[40:41], v[78:79], off
	global_load_dwordx2 v[56:57], v[70:71], off
	global_load_dwordx2 v[58:59], v[70:71], off offset:-4096
	global_load_dwordx2 v[42:43], v[78:79], off offset:2048
	global_load_dwordx2 v[62:63], v66, s[0:1]
	global_load_dwordx2 v[60:61], v[68:69], off offset:2048
	global_load_dwordx2 v[64:65], v66, s[0:1] offset:2048
	s_cmp_eq_u32 s7, 0
	s_cbranch_scc1 .LBB119_5
; %bb.1:
	s_movk_i32 s0, 0xff
	v_cmp_ne_u32_e32 vcc, s0, v0
	v_or_b32_e32 v67, 0x800, v66
	s_branch .LBB119_3
.LBB119_2:                              ;   in Loop: Header=BB119_3 Depth=1
	s_or_b64 exec, exec, s[0:1]
	s_waitcnt vmcnt(0)
	v_add_f64 v[68:69], v[62:63], -v[64:65]
	v_add_f64 v[62:63], v[62:63], v[68:69]
	v_add_f64 v[68:69], v[64:65], -v[58:59]
	v_add_f64 v[64:65], v[64:65], v[68:69]
	;; [unrolled: 2-line block ×30, first 2 shown]
	v_add_f64 v[68:69], v[40:41], -v[42:43]
	s_waitcnt lgkmcnt(0)
	v_add_f64 v[0:1], v[42:43], -v[0:1]
	s_add_i32 s7, s7, -1
	v_add_f64 v[40:41], v[40:41], v[68:69]
	v_add_f64 v[42:43], v[42:43], v[0:1]
	s_cmp_lg_u32 s7, 0
	s_barrier
	s_cbranch_scc0 .LBB119_5
.LBB119_3:                              ; =>This Inner Loop Header: Depth=1
	v_mov_b32_e32 v0, 0
	v_mov_b32_e32 v1, 0x405ec000
	s_waitcnt vmcnt(2)
	ds_write_b64 v66, v[62:63] offset:2048
	s_waitcnt lgkmcnt(0)
	s_barrier
	s_and_saveexec_b64 s[0:1], vcc
	s_cbranch_execz .LBB119_2
; %bb.4:                                ;   in Loop: Header=BB119_3 Depth=1
	ds_read_b64 v[0:1], v67 offset:8
	s_branch .LBB119_2
.LBB119_5:
	s_add_u32 s0, s2, s4
	s_addc_u32 s1, s3, s5
	v_mov_b32_e32 v0, s1
	v_add_co_u32_e32 v67, vcc, s0, v66
	v_addc_co_u32_e32 v68, vcc, 0, v0, vcc
	v_add_co_u32_e32 v0, vcc, 0x1000, v67
	v_addc_co_u32_e32 v1, vcc, 0, v68, vcc
	s_waitcnt vmcnt(2)
	global_store_dwordx2 v66, v[62:63], s[0:1]
	s_waitcnt vmcnt(1)
	global_store_dwordx2 v66, v[64:65], s[0:1] offset:2048
	global_store_dwordx2 v[0:1], v[58:59], off
	global_store_dwordx2 v[0:1], v[60:61], off offset:2048
	v_add_co_u32_e32 v0, vcc, 0x2000, v67
	v_addc_co_u32_e32 v1, vcc, 0, v68, vcc
	global_store_dwordx2 v[0:1], v[56:57], off
	global_store_dwordx2 v[0:1], v[54:55], off offset:2048
	v_add_co_u32_e32 v0, vcc, 0x3000, v67
	v_addc_co_u32_e32 v1, vcc, 0, v68, vcc
	;; [unrolled: 4-line block ×14, first 2 shown]
	global_store_dwordx2 v[0:1], v[40:41], off
	global_store_dwordx2 v[0:1], v[42:43], off offset:2048
	s_endpgm
	.section	.rodata,"a",@progbits
	.p2align	6, 0x0
	.amdhsa_kernel _Z6kernelI14subtract_rightLj256ELj32ELb1EJPdS1_jEEvDpT3_
		.amdhsa_group_segment_fixed_size 4096
		.amdhsa_private_segment_fixed_size 0
		.amdhsa_kernarg_size 20
		.amdhsa_user_sgpr_count 6
		.amdhsa_user_sgpr_private_segment_buffer 1
		.amdhsa_user_sgpr_dispatch_ptr 0
		.amdhsa_user_sgpr_queue_ptr 0
		.amdhsa_user_sgpr_kernarg_segment_ptr 1
		.amdhsa_user_sgpr_dispatch_id 0
		.amdhsa_user_sgpr_flat_scratch_init 0
		.amdhsa_user_sgpr_kernarg_preload_length 0
		.amdhsa_user_sgpr_kernarg_preload_offset 0
		.amdhsa_user_sgpr_private_segment_size 0
		.amdhsa_uses_dynamic_stack 0
		.amdhsa_system_sgpr_private_segment_wavefront_offset 0
		.amdhsa_system_sgpr_workgroup_id_x 1
		.amdhsa_system_sgpr_workgroup_id_y 0
		.amdhsa_system_sgpr_workgroup_id_z 0
		.amdhsa_system_sgpr_workgroup_info 0
		.amdhsa_system_vgpr_workitem_id 0
		.amdhsa_next_free_vgpr 80
		.amdhsa_next_free_sgpr 8
		.amdhsa_accum_offset 80
		.amdhsa_reserve_vcc 1
		.amdhsa_reserve_flat_scratch 0
		.amdhsa_float_round_mode_32 0
		.amdhsa_float_round_mode_16_64 0
		.amdhsa_float_denorm_mode_32 3
		.amdhsa_float_denorm_mode_16_64 3
		.amdhsa_dx10_clamp 1
		.amdhsa_ieee_mode 1
		.amdhsa_fp16_overflow 0
		.amdhsa_tg_split 0
		.amdhsa_exception_fp_ieee_invalid_op 0
		.amdhsa_exception_fp_denorm_src 0
		.amdhsa_exception_fp_ieee_div_zero 0
		.amdhsa_exception_fp_ieee_overflow 0
		.amdhsa_exception_fp_ieee_underflow 0
		.amdhsa_exception_fp_ieee_inexact 0
		.amdhsa_exception_int_div_zero 0
	.end_amdhsa_kernel
	.section	.text._Z6kernelI14subtract_rightLj256ELj32ELb1EJPdS1_jEEvDpT3_,"axG",@progbits,_Z6kernelI14subtract_rightLj256ELj32ELb1EJPdS1_jEEvDpT3_,comdat
.Lfunc_end119:
	.size	_Z6kernelI14subtract_rightLj256ELj32ELb1EJPdS1_jEEvDpT3_, .Lfunc_end119-_Z6kernelI14subtract_rightLj256ELj32ELb1EJPdS1_jEEvDpT3_
                                        ; -- End function
	.section	.AMDGPU.csdata,"",@progbits
; Kernel info:
; codeLenInByte = 1608
; NumSgprs: 12
; NumVgprs: 80
; NumAgprs: 0
; TotalNumVgprs: 80
; ScratchSize: 0
; MemoryBound: 0
; FloatMode: 240
; IeeeMode: 1
; LDSByteSize: 4096 bytes/workgroup (compile time only)
; SGPRBlocks: 1
; VGPRBlocks: 9
; NumSGPRsForWavesPerEU: 12
; NumVGPRsForWavesPerEU: 80
; AccumOffset: 80
; Occupancy: 6
; WaveLimiterHint : 1
; COMPUTE_PGM_RSRC2:SCRATCH_EN: 0
; COMPUTE_PGM_RSRC2:USER_SGPR: 6
; COMPUTE_PGM_RSRC2:TRAP_HANDLER: 0
; COMPUTE_PGM_RSRC2:TGID_X_EN: 1
; COMPUTE_PGM_RSRC2:TGID_Y_EN: 0
; COMPUTE_PGM_RSRC2:TGID_Z_EN: 0
; COMPUTE_PGM_RSRC2:TIDIG_COMP_CNT: 0
; COMPUTE_PGM_RSRC3_GFX90A:ACCUM_OFFSET: 19
; COMPUTE_PGM_RSRC3_GFX90A:TG_SPLIT: 0
	.section	.text._Z6kernelI26subtract_left_partial_tileLj256ELj1ELb0EJPiS1_S1_jEEvDpT3_,"axG",@progbits,_Z6kernelI26subtract_left_partial_tileLj256ELj1ELb0EJPiS1_S1_jEEvDpT3_,comdat
	.protected	_Z6kernelI26subtract_left_partial_tileLj256ELj1ELb0EJPiS1_S1_jEEvDpT3_ ; -- Begin function _Z6kernelI26subtract_left_partial_tileLj256ELj1ELb0EJPiS1_S1_jEEvDpT3_
	.globl	_Z6kernelI26subtract_left_partial_tileLj256ELj1ELb0EJPiS1_S1_jEEvDpT3_
	.p2align	8
	.type	_Z6kernelI26subtract_left_partial_tileLj256ELj1ELb0EJPiS1_S1_jEEvDpT3_,@function
_Z6kernelI26subtract_left_partial_tileLj256ELj1ELb0EJPiS1_S1_jEEvDpT3_: ; @_Z6kernelI26subtract_left_partial_tileLj256ELj1ELb0EJPiS1_S1_jEEvDpT3_
; %bb.0:
	s_load_dwordx4 s[12:15], s[4:5], 0x0
	s_load_dwordx2 s[2:3], s[4:5], 0x10
	s_lshl_b32 s0, s6, 8
	s_mov_b32 s1, 0
	s_lshl_b64 s[8:9], s[0:1], 2
	s_waitcnt lgkmcnt(0)
	s_add_u32 s10, s12, s8
	s_addc_u32 s11, s13, s9
	v_lshlrev_b32_e32 v2, 2, v0
	global_load_dword v1, v2, s[10:11]
	s_load_dword s10, s[4:5], 0x18
	s_mov_b32 s7, s1
	s_lshl_b64 s[0:1], s[6:7], 2
	s_add_u32 s0, s14, s0
	s_addc_u32 s1, s15, s1
	s_waitcnt lgkmcnt(0)
	v_cvt_f32_u32_e32 v3, s10
	s_load_dword s4, s[0:1], 0x0
	s_sub_i32 s0, 0, s10
	v_cmp_ne_u32_e32 vcc, 0, v0
	v_rcp_iflag_f32_e32 v3, v3
	v_mul_f32_e32 v3, 0x4f7ffffe, v3
	v_cvt_u32_f32_e32 v3, v3
	v_readfirstlane_b32 s1, v3
	s_mul_i32 s0, s0, s1
	s_mul_hi_u32 s0, s1, s0
	s_add_i32 s1, s1, s0
	s_lshr_b32 s0, s1, 24
	s_mul_i32 s1, s0, s10
	s_sub_i32 s1, 0x100, s1
	s_add_i32 s5, s0, 1
	s_sub_i32 s6, s1, s10
	s_cmp_ge_u32 s1, s10
	s_cselect_b32 s0, s5, s0
	s_cselect_b32 s1, s6, s1
	s_add_i32 s5, s0, 1
	s_cmp_ge_u32 s1, s10
	s_cselect_b32 s5, s5, s0
	s_add_i32 s5, s5, 1
	v_add_u32_e32 v3, -4, v2
	s_max_u32 s6, s10, 1
	s_branch .LBB120_2
.LBB120_1:                              ;   in Loop: Header=BB120_2 Depth=1
	s_or_b64 exec, exec, s[0:1]
	s_add_i32 s0, s5, s4
	s_and_b32 s4, s0, 0xff
	s_add_i32 s6, s6, -1
	v_add_u32_e32 v1, v4, v1
	s_cmp_lg_u32 s6, 0
	s_barrier
	s_cbranch_scc0 .LBB120_4
.LBB120_2:                              ; =>This Inner Loop Header: Depth=1
	s_waitcnt lgkmcnt(0)
	v_cmp_gt_u32_e64 s[0:1], s4, v0
	s_and_b64 s[10:11], vcc, s[0:1]
	s_waitcnt vmcnt(0)
	v_mov_b32_e32 v4, v1
	ds_write_b32 v2, v1
	s_waitcnt lgkmcnt(0)
	s_barrier
	s_and_saveexec_b64 s[0:1], s[10:11]
	s_cbranch_execz .LBB120_1
; %bb.3:                                ;   in Loop: Header=BB120_2 Depth=1
	ds_read_b32 v4, v3
	s_waitcnt lgkmcnt(0)
	v_sub_u32_e32 v4, v1, v4
	s_branch .LBB120_1
.LBB120_4:
	s_add_u32 s0, s2, s8
	s_addc_u32 s1, s3, s9
	v_lshlrev_b32_e32 v0, 2, v0
	global_store_dword v0, v1, s[0:1]
	s_endpgm
	.section	.rodata,"a",@progbits
	.p2align	6, 0x0
	.amdhsa_kernel _Z6kernelI26subtract_left_partial_tileLj256ELj1ELb0EJPiS1_S1_jEEvDpT3_
		.amdhsa_group_segment_fixed_size 2048
		.amdhsa_private_segment_fixed_size 0
		.amdhsa_kernarg_size 28
		.amdhsa_user_sgpr_count 6
		.amdhsa_user_sgpr_private_segment_buffer 1
		.amdhsa_user_sgpr_dispatch_ptr 0
		.amdhsa_user_sgpr_queue_ptr 0
		.amdhsa_user_sgpr_kernarg_segment_ptr 1
		.amdhsa_user_sgpr_dispatch_id 0
		.amdhsa_user_sgpr_flat_scratch_init 0
		.amdhsa_user_sgpr_kernarg_preload_length 0
		.amdhsa_user_sgpr_kernarg_preload_offset 0
		.amdhsa_user_sgpr_private_segment_size 0
		.amdhsa_uses_dynamic_stack 0
		.amdhsa_system_sgpr_private_segment_wavefront_offset 0
		.amdhsa_system_sgpr_workgroup_id_x 1
		.amdhsa_system_sgpr_workgroup_id_y 0
		.amdhsa_system_sgpr_workgroup_id_z 0
		.amdhsa_system_sgpr_workgroup_info 0
		.amdhsa_system_vgpr_workitem_id 0
		.amdhsa_next_free_vgpr 5
		.amdhsa_next_free_sgpr 16
		.amdhsa_accum_offset 8
		.amdhsa_reserve_vcc 1
		.amdhsa_reserve_flat_scratch 0
		.amdhsa_float_round_mode_32 0
		.amdhsa_float_round_mode_16_64 0
		.amdhsa_float_denorm_mode_32 3
		.amdhsa_float_denorm_mode_16_64 3
		.amdhsa_dx10_clamp 1
		.amdhsa_ieee_mode 1
		.amdhsa_fp16_overflow 0
		.amdhsa_tg_split 0
		.amdhsa_exception_fp_ieee_invalid_op 0
		.amdhsa_exception_fp_denorm_src 0
		.amdhsa_exception_fp_ieee_div_zero 0
		.amdhsa_exception_fp_ieee_overflow 0
		.amdhsa_exception_fp_ieee_underflow 0
		.amdhsa_exception_fp_ieee_inexact 0
		.amdhsa_exception_int_div_zero 0
	.end_amdhsa_kernel
	.section	.text._Z6kernelI26subtract_left_partial_tileLj256ELj1ELb0EJPiS1_S1_jEEvDpT3_,"axG",@progbits,_Z6kernelI26subtract_left_partial_tileLj256ELj1ELb0EJPiS1_S1_jEEvDpT3_,comdat
.Lfunc_end120:
	.size	_Z6kernelI26subtract_left_partial_tileLj256ELj1ELb0EJPiS1_S1_jEEvDpT3_, .Lfunc_end120-_Z6kernelI26subtract_left_partial_tileLj256ELj1ELb0EJPiS1_S1_jEEvDpT3_
                                        ; -- End function
	.section	.AMDGPU.csdata,"",@progbits
; Kernel info:
; codeLenInByte = 324
; NumSgprs: 20
; NumVgprs: 5
; NumAgprs: 0
; TotalNumVgprs: 5
; ScratchSize: 0
; MemoryBound: 0
; FloatMode: 240
; IeeeMode: 1
; LDSByteSize: 2048 bytes/workgroup (compile time only)
; SGPRBlocks: 2
; VGPRBlocks: 0
; NumSGPRsForWavesPerEU: 20
; NumVGPRsForWavesPerEU: 5
; AccumOffset: 8
; Occupancy: 8
; WaveLimiterHint : 0
; COMPUTE_PGM_RSRC2:SCRATCH_EN: 0
; COMPUTE_PGM_RSRC2:USER_SGPR: 6
; COMPUTE_PGM_RSRC2:TRAP_HANDLER: 0
; COMPUTE_PGM_RSRC2:TGID_X_EN: 1
; COMPUTE_PGM_RSRC2:TGID_Y_EN: 0
; COMPUTE_PGM_RSRC2:TGID_Z_EN: 0
; COMPUTE_PGM_RSRC2:TIDIG_COMP_CNT: 0
; COMPUTE_PGM_RSRC3_GFX90A:ACCUM_OFFSET: 1
; COMPUTE_PGM_RSRC3_GFX90A:TG_SPLIT: 0
	.section	.text._Z6kernelI26subtract_left_partial_tileLj256ELj3ELb0EJPiS1_S1_jEEvDpT3_,"axG",@progbits,_Z6kernelI26subtract_left_partial_tileLj256ELj3ELb0EJPiS1_S1_jEEvDpT3_,comdat
	.protected	_Z6kernelI26subtract_left_partial_tileLj256ELj3ELb0EJPiS1_S1_jEEvDpT3_ ; -- Begin function _Z6kernelI26subtract_left_partial_tileLj256ELj3ELb0EJPiS1_S1_jEEvDpT3_
	.globl	_Z6kernelI26subtract_left_partial_tileLj256ELj3ELb0EJPiS1_S1_jEEvDpT3_
	.p2align	8
	.type	_Z6kernelI26subtract_left_partial_tileLj256ELj3ELb0EJPiS1_S1_jEEvDpT3_,@function
_Z6kernelI26subtract_left_partial_tileLj256ELj3ELb0EJPiS1_S1_jEEvDpT3_: ; @_Z6kernelI26subtract_left_partial_tileLj256ELj3ELb0EJPiS1_S1_jEEvDpT3_
; %bb.0:
	s_load_dwordx4 s[12:15], s[4:5], 0x0
	s_load_dwordx2 s[2:3], s[4:5], 0x10
	s_mul_i32 s0, s6, 0x300
	s_mov_b32 s1, 0
	s_lshl_b64 s[8:9], s[0:1], 2
	s_waitcnt lgkmcnt(0)
	s_add_u32 s10, s12, s8
	s_addc_u32 s11, s13, s9
	v_lshlrev_b32_e32 v4, 2, v0
	global_load_dword v1, v4, s[10:11]
	global_load_dword v2, v4, s[10:11] offset:1024
	global_load_dword v3, v4, s[10:11] offset:2048
	s_load_dword s10, s[4:5], 0x18
	s_mov_b32 s7, s1
	s_lshl_b64 s[0:1], s[6:7], 2
	s_add_u32 s0, s14, s0
	s_addc_u32 s1, s15, s1
	s_waitcnt lgkmcnt(0)
	v_cvt_f32_u32_e32 v5, s10
	s_load_dword s4, s[0:1], 0x0
	s_sub_i32 s0, 0, s10
	v_mad_u32_u24 v6, v0, 3, 2
	v_rcp_iflag_f32_e32 v5, v5
	v_mad_u32_u24 v7, v0, 3, 1
	v_cmp_ne_u32_e32 vcc, 0, v0
	v_add_u32_e32 v8, -4, v4
	v_mul_f32_e32 v5, 0x4f7ffffe, v5
	v_cvt_u32_f32_e32 v5, v5
	v_readfirstlane_b32 s1, v5
	s_mul_i32 s0, s0, s1
	s_mul_hi_u32 s0, s1, s0
	s_add_i32 s1, s1, s0
	s_mul_hi_u32 s0, s1, 0x300
	s_mul_i32 s1, s0, s10
	s_sub_i32 s1, 0x300, s1
	s_add_i32 s5, s0, 1
	s_sub_i32 s6, s1, s10
	s_cmp_ge_u32 s1, s10
	s_cselect_b32 s0, s5, s0
	s_cselect_b32 s1, s6, s1
	s_add_i32 s5, s0, 1
	s_cmp_ge_u32 s1, s10
	s_cselect_b32 s5, s5, s0
	s_add_i32 s5, s5, 1
	v_mul_u32_u24_e32 v5, 3, v0
	s_max_u32 s6, s10, 1
	s_branch .LBB121_2
.LBB121_1:                              ;   in Loop: Header=BB121_2 Depth=1
	s_or_b64 exec, exec, s[0:1]
	s_add_i32 s0, s5, s4
	s_mul_hi_u32 s1, s0, 0xaaaaaaab
	s_lshr_b32 s1, s1, 9
	s_mulk_i32 s1, 0x300
	s_sub_i32 s4, s0, s1
	s_add_i32 s6, s6, -1
	v_add_u32_e32 v1, v11, v1
	v_add_u32_e32 v2, v10, v2
	;; [unrolled: 1-line block ×3, first 2 shown]
	s_cmp_lg_u32 s6, 0
	s_barrier
	s_cbranch_scc0 .LBB121_4
.LBB121_2:                              ; =>This Inner Loop Header: Depth=1
	s_waitcnt vmcnt(0)
	v_sub_u32_e32 v9, v3, v2
	s_waitcnt lgkmcnt(0)
	v_cmp_gt_u32_e64 s[0:1], s4, v6
	v_cndmask_b32_e64 v9, v3, v9, s[0:1]
	v_sub_u32_e32 v10, v2, v1
	v_cmp_gt_u32_e64 s[0:1], s4, v7
	v_cndmask_b32_e64 v10, v2, v10, s[0:1]
	v_cmp_gt_u32_e64 s[0:1], s4, v5
	s_and_b64 s[10:11], vcc, s[0:1]
	v_mov_b32_e32 v11, v1
	ds_write_b32 v4, v3
	s_waitcnt lgkmcnt(0)
	s_barrier
	s_and_saveexec_b64 s[0:1], s[10:11]
	s_cbranch_execz .LBB121_1
; %bb.3:                                ;   in Loop: Header=BB121_2 Depth=1
	ds_read_b32 v11, v8
	s_waitcnt lgkmcnt(0)
	v_sub_u32_e32 v11, v1, v11
	s_branch .LBB121_1
.LBB121_4:
	s_add_u32 s0, s2, s8
	s_addc_u32 s1, s3, s9
	v_lshlrev_b32_e32 v0, 2, v0
	global_store_dword v0, v1, s[0:1]
	global_store_dword v0, v2, s[0:1] offset:1024
	global_store_dword v0, v3, s[0:1] offset:2048
	s_endpgm
	.section	.rodata,"a",@progbits
	.p2align	6, 0x0
	.amdhsa_kernel _Z6kernelI26subtract_left_partial_tileLj256ELj3ELb0EJPiS1_S1_jEEvDpT3_
		.amdhsa_group_segment_fixed_size 2048
		.amdhsa_private_segment_fixed_size 0
		.amdhsa_kernarg_size 28
		.amdhsa_user_sgpr_count 6
		.amdhsa_user_sgpr_private_segment_buffer 1
		.amdhsa_user_sgpr_dispatch_ptr 0
		.amdhsa_user_sgpr_queue_ptr 0
		.amdhsa_user_sgpr_kernarg_segment_ptr 1
		.amdhsa_user_sgpr_dispatch_id 0
		.amdhsa_user_sgpr_flat_scratch_init 0
		.amdhsa_user_sgpr_kernarg_preload_length 0
		.amdhsa_user_sgpr_kernarg_preload_offset 0
		.amdhsa_user_sgpr_private_segment_size 0
		.amdhsa_uses_dynamic_stack 0
		.amdhsa_system_sgpr_private_segment_wavefront_offset 0
		.amdhsa_system_sgpr_workgroup_id_x 1
		.amdhsa_system_sgpr_workgroup_id_y 0
		.amdhsa_system_sgpr_workgroup_id_z 0
		.amdhsa_system_sgpr_workgroup_info 0
		.amdhsa_system_vgpr_workitem_id 0
		.amdhsa_next_free_vgpr 12
		.amdhsa_next_free_sgpr 16
		.amdhsa_accum_offset 12
		.amdhsa_reserve_vcc 1
		.amdhsa_reserve_flat_scratch 0
		.amdhsa_float_round_mode_32 0
		.amdhsa_float_round_mode_16_64 0
		.amdhsa_float_denorm_mode_32 3
		.amdhsa_float_denorm_mode_16_64 3
		.amdhsa_dx10_clamp 1
		.amdhsa_ieee_mode 1
		.amdhsa_fp16_overflow 0
		.amdhsa_tg_split 0
		.amdhsa_exception_fp_ieee_invalid_op 0
		.amdhsa_exception_fp_denorm_src 0
		.amdhsa_exception_fp_ieee_div_zero 0
		.amdhsa_exception_fp_ieee_overflow 0
		.amdhsa_exception_fp_ieee_underflow 0
		.amdhsa_exception_fp_ieee_inexact 0
		.amdhsa_exception_int_div_zero 0
	.end_amdhsa_kernel
	.section	.text._Z6kernelI26subtract_left_partial_tileLj256ELj3ELb0EJPiS1_S1_jEEvDpT3_,"axG",@progbits,_Z6kernelI26subtract_left_partial_tileLj256ELj3ELb0EJPiS1_S1_jEEvDpT3_,comdat
.Lfunc_end121:
	.size	_Z6kernelI26subtract_left_partial_tileLj256ELj3ELb0EJPiS1_S1_jEEvDpT3_, .Lfunc_end121-_Z6kernelI26subtract_left_partial_tileLj256ELj3ELb0EJPiS1_S1_jEEvDpT3_
                                        ; -- End function
	.section	.AMDGPU.csdata,"",@progbits
; Kernel info:
; codeLenInByte = 444
; NumSgprs: 20
; NumVgprs: 12
; NumAgprs: 0
; TotalNumVgprs: 12
; ScratchSize: 0
; MemoryBound: 0
; FloatMode: 240
; IeeeMode: 1
; LDSByteSize: 2048 bytes/workgroup (compile time only)
; SGPRBlocks: 2
; VGPRBlocks: 1
; NumSGPRsForWavesPerEU: 20
; NumVGPRsForWavesPerEU: 12
; AccumOffset: 12
; Occupancy: 8
; WaveLimiterHint : 1
; COMPUTE_PGM_RSRC2:SCRATCH_EN: 0
; COMPUTE_PGM_RSRC2:USER_SGPR: 6
; COMPUTE_PGM_RSRC2:TRAP_HANDLER: 0
; COMPUTE_PGM_RSRC2:TGID_X_EN: 1
; COMPUTE_PGM_RSRC2:TGID_Y_EN: 0
; COMPUTE_PGM_RSRC2:TGID_Z_EN: 0
; COMPUTE_PGM_RSRC2:TIDIG_COMP_CNT: 0
; COMPUTE_PGM_RSRC3_GFX90A:ACCUM_OFFSET: 2
; COMPUTE_PGM_RSRC3_GFX90A:TG_SPLIT: 0
	.section	.text._Z6kernelI26subtract_left_partial_tileLj256ELj4ELb0EJPiS1_S1_jEEvDpT3_,"axG",@progbits,_Z6kernelI26subtract_left_partial_tileLj256ELj4ELb0EJPiS1_S1_jEEvDpT3_,comdat
	.protected	_Z6kernelI26subtract_left_partial_tileLj256ELj4ELb0EJPiS1_S1_jEEvDpT3_ ; -- Begin function _Z6kernelI26subtract_left_partial_tileLj256ELj4ELb0EJPiS1_S1_jEEvDpT3_
	.globl	_Z6kernelI26subtract_left_partial_tileLj256ELj4ELb0EJPiS1_S1_jEEvDpT3_
	.p2align	8
	.type	_Z6kernelI26subtract_left_partial_tileLj256ELj4ELb0EJPiS1_S1_jEEvDpT3_,@function
_Z6kernelI26subtract_left_partial_tileLj256ELj4ELb0EJPiS1_S1_jEEvDpT3_: ; @_Z6kernelI26subtract_left_partial_tileLj256ELj4ELb0EJPiS1_S1_jEEvDpT3_
; %bb.0:
	s_load_dwordx4 s[12:15], s[4:5], 0x0
	s_load_dwordx2 s[2:3], s[4:5], 0x10
	s_lshl_b32 s0, s6, 10
	s_mov_b32 s1, 0
	s_lshl_b64 s[8:9], s[0:1], 2
	s_waitcnt lgkmcnt(0)
	s_add_u32 s10, s12, s8
	s_addc_u32 s11, s13, s9
	v_lshlrev_b32_e32 v5, 2, v0
	global_load_dword v1, v5, s[10:11]
	global_load_dword v2, v5, s[10:11] offset:1024
	global_load_dword v3, v5, s[10:11] offset:2048
	global_load_dword v4, v5, s[10:11] offset:3072
	s_load_dword s10, s[4:5], 0x18
	s_mov_b32 s7, s1
	s_lshl_b64 s[0:1], s[6:7], 2
	s_add_u32 s0, s14, s0
	s_addc_u32 s1, s15, s1
	s_waitcnt lgkmcnt(0)
	v_cvt_f32_u32_e32 v6, s10
	s_load_dword s4, s[0:1], 0x0
	s_sub_i32 s0, 0, s10
	v_or_b32_e32 v7, 2, v5
	v_rcp_iflag_f32_e32 v6, v6
	v_or_b32_e32 v8, 1, v5
	v_cmp_ne_u32_e32 vcc, 0, v0
	v_add_u32_e32 v9, -4, v5
	v_mul_f32_e32 v6, 0x4f7ffffe, v6
	v_cvt_u32_f32_e32 v6, v6
	v_readfirstlane_b32 s1, v6
	s_mul_i32 s0, s0, s1
	s_mul_hi_u32 s0, s1, s0
	s_add_i32 s1, s1, s0
	s_lshr_b32 s0, s1, 22
	s_mul_i32 s1, s0, s10
	s_sub_i32 s1, 0x400, s1
	s_add_i32 s5, s0, 1
	s_sub_i32 s6, s1, s10
	s_cmp_ge_u32 s1, s10
	s_cselect_b32 s0, s5, s0
	s_cselect_b32 s1, s6, s1
	s_add_i32 s5, s0, 1
	s_cmp_ge_u32 s1, s10
	s_cselect_b32 s5, s5, s0
	s_add_i32 s5, s5, 1
	v_or_b32_e32 v6, 3, v5
	s_max_u32 s6, s10, 1
	s_branch .LBB122_2
.LBB122_1:                              ;   in Loop: Header=BB122_2 Depth=1
	s_or_b64 exec, exec, s[0:1]
	s_add_i32 s0, s5, s4
	s_and_b32 s4, s0, 0x3ff
	s_add_i32 s6, s6, -1
	v_add_u32_e32 v1, v13, v1
	v_add_u32_e32 v2, v12, v2
	;; [unrolled: 1-line block ×4, first 2 shown]
	s_cmp_lg_u32 s6, 0
	s_barrier
	s_cbranch_scc0 .LBB122_4
.LBB122_2:                              ; =>This Inner Loop Header: Depth=1
	s_waitcnt vmcnt(0)
	v_sub_u32_e32 v10, v4, v3
	s_waitcnt lgkmcnt(0)
	v_cmp_gt_u32_e64 s[0:1], s4, v6
	v_cndmask_b32_e64 v10, v4, v10, s[0:1]
	v_sub_u32_e32 v11, v3, v2
	v_cmp_gt_u32_e64 s[0:1], s4, v7
	v_cndmask_b32_e64 v11, v3, v11, s[0:1]
	v_sub_u32_e32 v12, v2, v1
	v_cmp_gt_u32_e64 s[0:1], s4, v8
	v_cndmask_b32_e64 v12, v2, v12, s[0:1]
	v_cmp_gt_u32_e64 s[0:1], s4, v5
	s_and_b64 s[10:11], vcc, s[0:1]
	v_mov_b32_e32 v13, v1
	ds_write_b32 v5, v4
	s_waitcnt lgkmcnt(0)
	s_barrier
	s_and_saveexec_b64 s[0:1], s[10:11]
	s_cbranch_execz .LBB122_1
; %bb.3:                                ;   in Loop: Header=BB122_2 Depth=1
	ds_read_b32 v13, v9
	s_waitcnt lgkmcnt(0)
	v_sub_u32_e32 v13, v1, v13
	s_branch .LBB122_1
.LBB122_4:
	s_add_u32 s0, s2, s8
	s_addc_u32 s1, s3, s9
	v_lshlrev_b32_e32 v0, 2, v0
	global_store_dword v0, v1, s[0:1]
	global_store_dword v0, v2, s[0:1] offset:1024
	global_store_dword v0, v3, s[0:1] offset:2048
	;; [unrolled: 1-line block ×3, first 2 shown]
	s_endpgm
	.section	.rodata,"a",@progbits
	.p2align	6, 0x0
	.amdhsa_kernel _Z6kernelI26subtract_left_partial_tileLj256ELj4ELb0EJPiS1_S1_jEEvDpT3_
		.amdhsa_group_segment_fixed_size 2048
		.amdhsa_private_segment_fixed_size 0
		.amdhsa_kernarg_size 28
		.amdhsa_user_sgpr_count 6
		.amdhsa_user_sgpr_private_segment_buffer 1
		.amdhsa_user_sgpr_dispatch_ptr 0
		.amdhsa_user_sgpr_queue_ptr 0
		.amdhsa_user_sgpr_kernarg_segment_ptr 1
		.amdhsa_user_sgpr_dispatch_id 0
		.amdhsa_user_sgpr_flat_scratch_init 0
		.amdhsa_user_sgpr_kernarg_preload_length 0
		.amdhsa_user_sgpr_kernarg_preload_offset 0
		.amdhsa_user_sgpr_private_segment_size 0
		.amdhsa_uses_dynamic_stack 0
		.amdhsa_system_sgpr_private_segment_wavefront_offset 0
		.amdhsa_system_sgpr_workgroup_id_x 1
		.amdhsa_system_sgpr_workgroup_id_y 0
		.amdhsa_system_sgpr_workgroup_id_z 0
		.amdhsa_system_sgpr_workgroup_info 0
		.amdhsa_system_vgpr_workitem_id 0
		.amdhsa_next_free_vgpr 14
		.amdhsa_next_free_sgpr 16
		.amdhsa_accum_offset 16
		.amdhsa_reserve_vcc 1
		.amdhsa_reserve_flat_scratch 0
		.amdhsa_float_round_mode_32 0
		.amdhsa_float_round_mode_16_64 0
		.amdhsa_float_denorm_mode_32 3
		.amdhsa_float_denorm_mode_16_64 3
		.amdhsa_dx10_clamp 1
		.amdhsa_ieee_mode 1
		.amdhsa_fp16_overflow 0
		.amdhsa_tg_split 0
		.amdhsa_exception_fp_ieee_invalid_op 0
		.amdhsa_exception_fp_denorm_src 0
		.amdhsa_exception_fp_ieee_div_zero 0
		.amdhsa_exception_fp_ieee_overflow 0
		.amdhsa_exception_fp_ieee_underflow 0
		.amdhsa_exception_fp_ieee_inexact 0
		.amdhsa_exception_int_div_zero 0
	.end_amdhsa_kernel
	.section	.text._Z6kernelI26subtract_left_partial_tileLj256ELj4ELb0EJPiS1_S1_jEEvDpT3_,"axG",@progbits,_Z6kernelI26subtract_left_partial_tileLj256ELj4ELb0EJPiS1_S1_jEEvDpT3_,comdat
.Lfunc_end122:
	.size	_Z6kernelI26subtract_left_partial_tileLj256ELj4ELb0EJPiS1_S1_jEEvDpT3_, .Lfunc_end122-_Z6kernelI26subtract_left_partial_tileLj256ELj4ELb0EJPiS1_S1_jEEvDpT3_
                                        ; -- End function
	.section	.AMDGPU.csdata,"",@progbits
; Kernel info:
; codeLenInByte = 456
; NumSgprs: 20
; NumVgprs: 14
; NumAgprs: 0
; TotalNumVgprs: 14
; ScratchSize: 0
; MemoryBound: 0
; FloatMode: 240
; IeeeMode: 1
; LDSByteSize: 2048 bytes/workgroup (compile time only)
; SGPRBlocks: 2
; VGPRBlocks: 1
; NumSGPRsForWavesPerEU: 20
; NumVGPRsForWavesPerEU: 14
; AccumOffset: 16
; Occupancy: 8
; WaveLimiterHint : 1
; COMPUTE_PGM_RSRC2:SCRATCH_EN: 0
; COMPUTE_PGM_RSRC2:USER_SGPR: 6
; COMPUTE_PGM_RSRC2:TRAP_HANDLER: 0
; COMPUTE_PGM_RSRC2:TGID_X_EN: 1
; COMPUTE_PGM_RSRC2:TGID_Y_EN: 0
; COMPUTE_PGM_RSRC2:TGID_Z_EN: 0
; COMPUTE_PGM_RSRC2:TIDIG_COMP_CNT: 0
; COMPUTE_PGM_RSRC3_GFX90A:ACCUM_OFFSET: 3
; COMPUTE_PGM_RSRC3_GFX90A:TG_SPLIT: 0
	.section	.text._Z6kernelI26subtract_left_partial_tileLj256ELj8ELb0EJPiS1_S1_jEEvDpT3_,"axG",@progbits,_Z6kernelI26subtract_left_partial_tileLj256ELj8ELb0EJPiS1_S1_jEEvDpT3_,comdat
	.protected	_Z6kernelI26subtract_left_partial_tileLj256ELj8ELb0EJPiS1_S1_jEEvDpT3_ ; -- Begin function _Z6kernelI26subtract_left_partial_tileLj256ELj8ELb0EJPiS1_S1_jEEvDpT3_
	.globl	_Z6kernelI26subtract_left_partial_tileLj256ELj8ELb0EJPiS1_S1_jEEvDpT3_
	.p2align	8
	.type	_Z6kernelI26subtract_left_partial_tileLj256ELj8ELb0EJPiS1_S1_jEEvDpT3_,@function
_Z6kernelI26subtract_left_partial_tileLj256ELj8ELb0EJPiS1_S1_jEEvDpT3_: ; @_Z6kernelI26subtract_left_partial_tileLj256ELj8ELb0EJPiS1_S1_jEEvDpT3_
; %bb.0:
	s_load_dwordx4 s[0:3], s[4:5], 0x0
	s_load_dwordx2 s[8:9], s[4:5], 0x10
	s_lshl_b32 s12, s6, 11
	s_mov_b32 s13, 0
	s_lshl_b64 s[10:11], s[12:13], 2
	s_waitcnt lgkmcnt(0)
	s_add_u32 s0, s0, s10
	s_addc_u32 s1, s1, s11
	v_lshlrev_b32_e32 v9, 2, v0
	v_mov_b32_e32 v1, s1
	v_add_co_u32_e32 v5, vcc, s0, v9
	v_addc_co_u32_e32 v6, vcc, 0, v1, vcc
	global_load_dword v1, v9, s[0:1]
	global_load_dword v2, v9, s[0:1] offset:1024
	global_load_dword v3, v9, s[0:1] offset:2048
	;; [unrolled: 1-line block ×3, first 2 shown]
	s_movk_i32 s0, 0x1000
	v_add_co_u32_e32 v10, vcc, s0, v5
	v_addc_co_u32_e32 v11, vcc, 0, v6, vcc
	global_load_dword v5, v[10:11], off
	global_load_dword v6, v[10:11], off offset:1024
	global_load_dword v7, v[10:11], off offset:2048
	;; [unrolled: 1-line block ×3, first 2 shown]
	s_load_dword s4, s[4:5], 0x18
	s_mov_b32 s7, s13
	s_lshl_b64 s[0:1], s[6:7], 2
	s_add_u32 s0, s2, s0
	s_addc_u32 s1, s3, s1
	s_waitcnt lgkmcnt(0)
	v_cvt_f32_u32_e32 v10, s4
	s_load_dword s2, s[0:1], 0x0
	s_sub_i32 s0, 0, s4
	v_cmp_ne_u32_e32 vcc, 0, v0
	v_rcp_iflag_f32_e32 v10, v10
	v_add_u32_e32 v18, -4, v9
	v_mul_f32_e32 v10, 0x4f7ffffe, v10
	v_cvt_u32_f32_e32 v10, v10
	v_readfirstlane_b32 s1, v10
	s_mul_i32 s0, s0, s1
	s_mul_hi_u32 s0, s1, s0
	s_add_i32 s1, s1, s0
	s_lshr_b32 s0, s1, 21
	s_mul_i32 s1, s0, s4
	s_sub_i32 s1, 0x800, s1
	s_add_i32 s3, s0, 1
	s_sub_i32 s5, s1, s4
	s_cmp_ge_u32 s1, s4
	s_cselect_b32 s0, s3, s0
	s_cselect_b32 s1, s5, s1
	s_add_i32 s3, s0, 1
	s_cmp_ge_u32 s1, s4
	s_cselect_b32 s3, s3, s0
	v_lshlrev_b32_e32 v10, 3, v0
	s_add_i32 s3, s3, 1
	v_or_b32_e32 v11, 7, v10
	v_or_b32_e32 v12, 6, v10
	;; [unrolled: 1-line block ×7, first 2 shown]
	s_max_u32 s4, s4, 1
	s_branch .LBB123_2
.LBB123_1:                              ;   in Loop: Header=BB123_2 Depth=1
	s_or_b64 exec, exec, s[0:1]
	v_cmp_gt_u32_e64 s[0:1], s2, v11
	v_cndmask_b32_e64 v20, 0, v7, s[0:1]
	v_cmp_gt_u32_e64 s[0:1], s2, v12
	v_cndmask_b32_e64 v21, 0, v6, s[0:1]
	;; [unrolled: 2-line block ×7, first 2 shown]
	s_add_i32 s0, s3, s2
	v_sub_u32_e32 v20, v8, v20
	v_sub_u32_e32 v21, v7, v21
	;; [unrolled: 1-line block ×7, first 2 shown]
	s_and_b32 s2, s0, 0x7ff
	s_add_i32 s4, s4, -1
	v_add_u32_e32 v1, v19, v1
	v_add_u32_e32 v2, v26, v2
	;; [unrolled: 1-line block ×8, first 2 shown]
	s_cmp_lg_u32 s4, 0
	s_barrier
	s_cbranch_scc0 .LBB123_4
.LBB123_2:                              ; =>This Inner Loop Header: Depth=1
	s_waitcnt lgkmcnt(0)
	v_cmp_gt_u32_e64 s[0:1], s2, v10
	s_and_b64 s[6:7], vcc, s[0:1]
	s_waitcnt vmcnt(7)
	v_mov_b32_e32 v19, v1
	s_waitcnt vmcnt(0)
	ds_write_b32 v9, v8
	s_waitcnt lgkmcnt(0)
	s_barrier
	s_and_saveexec_b64 s[0:1], s[6:7]
	s_cbranch_execz .LBB123_1
; %bb.3:                                ;   in Loop: Header=BB123_2 Depth=1
	ds_read_b32 v19, v18
	s_waitcnt lgkmcnt(0)
	v_sub_u32_e32 v19, v1, v19
	s_branch .LBB123_1
.LBB123_4:
	s_add_u32 s0, s8, s10
	s_addc_u32 s1, s9, s11
	v_lshlrev_b32_e32 v0, 2, v0
	v_mov_b32_e32 v9, s1
	v_add_co_u32_e32 v10, vcc, s0, v0
	v_addc_co_u32_e32 v9, vcc, 0, v9, vcc
	global_store_dword v0, v1, s[0:1]
	global_store_dword v0, v2, s[0:1] offset:1024
	global_store_dword v0, v3, s[0:1] offset:2048
	;; [unrolled: 1-line block ×3, first 2 shown]
	v_add_co_u32_e32 v0, vcc, 0x1000, v10
	v_addc_co_u32_e32 v1, vcc, 0, v9, vcc
	global_store_dword v[0:1], v5, off
	global_store_dword v[0:1], v6, off offset:1024
	global_store_dword v[0:1], v7, off offset:2048
	;; [unrolled: 1-line block ×3, first 2 shown]
	s_endpgm
	.section	.rodata,"a",@progbits
	.p2align	6, 0x0
	.amdhsa_kernel _Z6kernelI26subtract_left_partial_tileLj256ELj8ELb0EJPiS1_S1_jEEvDpT3_
		.amdhsa_group_segment_fixed_size 2048
		.amdhsa_private_segment_fixed_size 0
		.amdhsa_kernarg_size 28
		.amdhsa_user_sgpr_count 6
		.amdhsa_user_sgpr_private_segment_buffer 1
		.amdhsa_user_sgpr_dispatch_ptr 0
		.amdhsa_user_sgpr_queue_ptr 0
		.amdhsa_user_sgpr_kernarg_segment_ptr 1
		.amdhsa_user_sgpr_dispatch_id 0
		.amdhsa_user_sgpr_flat_scratch_init 0
		.amdhsa_user_sgpr_kernarg_preload_length 0
		.amdhsa_user_sgpr_kernarg_preload_offset 0
		.amdhsa_user_sgpr_private_segment_size 0
		.amdhsa_uses_dynamic_stack 0
		.amdhsa_system_sgpr_private_segment_wavefront_offset 0
		.amdhsa_system_sgpr_workgroup_id_x 1
		.amdhsa_system_sgpr_workgroup_id_y 0
		.amdhsa_system_sgpr_workgroup_id_z 0
		.amdhsa_system_sgpr_workgroup_info 0
		.amdhsa_system_vgpr_workitem_id 0
		.amdhsa_next_free_vgpr 27
		.amdhsa_next_free_sgpr 14
		.amdhsa_accum_offset 28
		.amdhsa_reserve_vcc 1
		.amdhsa_reserve_flat_scratch 0
		.amdhsa_float_round_mode_32 0
		.amdhsa_float_round_mode_16_64 0
		.amdhsa_float_denorm_mode_32 3
		.amdhsa_float_denorm_mode_16_64 3
		.amdhsa_dx10_clamp 1
		.amdhsa_ieee_mode 1
		.amdhsa_fp16_overflow 0
		.amdhsa_tg_split 0
		.amdhsa_exception_fp_ieee_invalid_op 0
		.amdhsa_exception_fp_denorm_src 0
		.amdhsa_exception_fp_ieee_div_zero 0
		.amdhsa_exception_fp_ieee_overflow 0
		.amdhsa_exception_fp_ieee_underflow 0
		.amdhsa_exception_fp_ieee_inexact 0
		.amdhsa_exception_int_div_zero 0
	.end_amdhsa_kernel
	.section	.text._Z6kernelI26subtract_left_partial_tileLj256ELj8ELb0EJPiS1_S1_jEEvDpT3_,"axG",@progbits,_Z6kernelI26subtract_left_partial_tileLj256ELj8ELb0EJPiS1_S1_jEEvDpT3_,comdat
.Lfunc_end123:
	.size	_Z6kernelI26subtract_left_partial_tileLj256ELj8ELb0EJPiS1_S1_jEEvDpT3_, .Lfunc_end123-_Z6kernelI26subtract_left_partial_tileLj256ELj8ELb0EJPiS1_S1_jEEvDpT3_
                                        ; -- End function
	.section	.AMDGPU.csdata,"",@progbits
; Kernel info:
; codeLenInByte = 688
; NumSgprs: 18
; NumVgprs: 27
; NumAgprs: 0
; TotalNumVgprs: 27
; ScratchSize: 0
; MemoryBound: 0
; FloatMode: 240
; IeeeMode: 1
; LDSByteSize: 2048 bytes/workgroup (compile time only)
; SGPRBlocks: 2
; VGPRBlocks: 3
; NumSGPRsForWavesPerEU: 18
; NumVGPRsForWavesPerEU: 27
; AccumOffset: 28
; Occupancy: 8
; WaveLimiterHint : 1
; COMPUTE_PGM_RSRC2:SCRATCH_EN: 0
; COMPUTE_PGM_RSRC2:USER_SGPR: 6
; COMPUTE_PGM_RSRC2:TRAP_HANDLER: 0
; COMPUTE_PGM_RSRC2:TGID_X_EN: 1
; COMPUTE_PGM_RSRC2:TGID_Y_EN: 0
; COMPUTE_PGM_RSRC2:TGID_Z_EN: 0
; COMPUTE_PGM_RSRC2:TIDIG_COMP_CNT: 0
; COMPUTE_PGM_RSRC3_GFX90A:ACCUM_OFFSET: 6
; COMPUTE_PGM_RSRC3_GFX90A:TG_SPLIT: 0
	.section	.text._Z6kernelI26subtract_left_partial_tileLj256ELj16ELb0EJPiS1_S1_jEEvDpT3_,"axG",@progbits,_Z6kernelI26subtract_left_partial_tileLj256ELj16ELb0EJPiS1_S1_jEEvDpT3_,comdat
	.protected	_Z6kernelI26subtract_left_partial_tileLj256ELj16ELb0EJPiS1_S1_jEEvDpT3_ ; -- Begin function _Z6kernelI26subtract_left_partial_tileLj256ELj16ELb0EJPiS1_S1_jEEvDpT3_
	.globl	_Z6kernelI26subtract_left_partial_tileLj256ELj16ELb0EJPiS1_S1_jEEvDpT3_
	.p2align	8
	.type	_Z6kernelI26subtract_left_partial_tileLj256ELj16ELb0EJPiS1_S1_jEEvDpT3_,@function
_Z6kernelI26subtract_left_partial_tileLj256ELj16ELb0EJPiS1_S1_jEEvDpT3_: ; @_Z6kernelI26subtract_left_partial_tileLj256ELj16ELb0EJPiS1_S1_jEEvDpT3_
; %bb.0:
	s_load_dwordx4 s[0:3], s[4:5], 0x0
	s_load_dwordx2 s[8:9], s[4:5], 0x10
	s_lshl_b32 s12, s6, 12
	s_mov_b32 s13, 0
	s_lshl_b64 s[10:11], s[12:13], 2
	s_waitcnt lgkmcnt(0)
	s_add_u32 s0, s0, s10
	s_addc_u32 s1, s1, s11
	v_lshlrev_b32_e32 v13, 2, v0
	v_mov_b32_e32 v1, s1
	v_add_co_u32_e32 v9, vcc, s0, v13
	v_addc_co_u32_e32 v12, vcc, 0, v1, vcc
	global_load_dword v4, v13, s[0:1]
	global_load_dword v3, v13, s[0:1] offset:1024
	global_load_dword v2, v13, s[0:1] offset:2048
	;; [unrolled: 1-line block ×3, first 2 shown]
	s_movk_i32 s0, 0x1000
	v_add_co_u32_e32 v18, vcc, s0, v9
	v_addc_co_u32_e32 v19, vcc, 0, v12, vcc
	s_movk_i32 s0, 0x2000
	v_add_co_u32_e32 v10, vcc, s0, v9
	v_addc_co_u32_e32 v11, vcc, 0, v12, vcc
	s_movk_i32 s0, 0x3000
	v_add_co_u32_e32 v20, vcc, s0, v9
	global_load_dword v14, v[10:11], off offset:-4096
	global_load_dword v8, v[10:11], off
	global_load_dword v7, v[10:11], off offset:1024
	global_load_dword v6, v[10:11], off offset:2048
	;; [unrolled: 1-line block ×3, first 2 shown]
	v_addc_co_u32_e32 v21, vcc, 0, v12, vcc
	global_load_dword v17, v[18:19], off offset:1024
	global_load_dword v16, v[18:19], off offset:2048
	global_load_dword v15, v[18:19], off offset:3072
	global_load_dword v12, v[20:21], off
	global_load_dword v11, v[20:21], off offset:1024
	global_load_dword v10, v[20:21], off offset:2048
	;; [unrolled: 1-line block ×3, first 2 shown]
	s_load_dword s4, s[4:5], 0x18
	s_mov_b32 s7, s13
	s_lshl_b64 s[0:1], s[6:7], 2
	s_add_u32 s0, s2, s0
	s_addc_u32 s1, s3, s1
	s_waitcnt lgkmcnt(0)
	v_cvt_f32_u32_e32 v18, s4
	s_load_dword s2, s[0:1], 0x0
	s_sub_i32 s0, 0, s4
	v_cmp_ne_u32_e32 vcc, 0, v0
	v_rcp_iflag_f32_e32 v18, v18
	v_add_u32_e32 v34, -4, v13
	v_mul_f32_e32 v18, 0x4f7ffffe, v18
	v_cvt_u32_f32_e32 v18, v18
	v_readfirstlane_b32 s1, v18
	s_mul_i32 s0, s0, s1
	s_mul_hi_u32 s0, s1, s0
	s_add_i32 s1, s1, s0
	s_lshr_b32 s0, s1, 20
	s_mul_i32 s1, s0, s4
	s_sub_i32 s1, 0x1000, s1
	s_add_i32 s3, s0, 1
	s_sub_i32 s5, s1, s4
	s_cmp_ge_u32 s1, s4
	s_cselect_b32 s0, s3, s0
	s_cselect_b32 s1, s5, s1
	s_add_i32 s3, s0, 1
	s_cmp_ge_u32 s1, s4
	s_cselect_b32 s3, s3, s0
	v_lshlrev_b32_e32 v18, 4, v0
	s_add_i32 s3, s3, 1
	v_or_b32_e32 v19, 15, v18
	v_or_b32_e32 v20, 14, v18
	;; [unrolled: 1-line block ×15, first 2 shown]
	s_max_u32 s4, s4, 1
	s_branch .LBB124_2
.LBB124_1:                              ;   in Loop: Header=BB124_2 Depth=1
	s_or_b64 exec, exec, s[0:1]
	v_cmp_gt_u32_e64 s[0:1], s2, v19
	v_cndmask_b32_e64 v36, 0, v10, s[0:1]
	v_cmp_gt_u32_e64 s[0:1], s2, v20
	v_cndmask_b32_e64 v37, 0, v11, s[0:1]
	;; [unrolled: 2-line block ×15, first 2 shown]
	s_add_i32 s0, s3, s2
	v_sub_u32_e32 v36, v9, v36
	v_sub_u32_e32 v37, v10, v37
	;; [unrolled: 1-line block ×15, first 2 shown]
	s_and_b32 s2, s0, 0xfff
	s_add_i32 s4, s4, -1
	v_add_u32_e32 v4, v35, v4
	v_add_u32_e32 v3, v50, v3
	;; [unrolled: 1-line block ×16, first 2 shown]
	s_cmp_lg_u32 s4, 0
	s_barrier
	s_cbranch_scc0 .LBB124_4
.LBB124_2:                              ; =>This Inner Loop Header: Depth=1
	s_waitcnt lgkmcnt(0)
	v_cmp_gt_u32_e64 s[0:1], s2, v18
	s_and_b64 s[6:7], vcc, s[0:1]
	s_waitcnt vmcnt(15)
	v_mov_b32_e32 v35, v4
	s_waitcnt vmcnt(0)
	ds_write_b32 v13, v9
	s_waitcnt lgkmcnt(0)
	s_barrier
	s_and_saveexec_b64 s[0:1], s[6:7]
	s_cbranch_execz .LBB124_1
; %bb.3:                                ;   in Loop: Header=BB124_2 Depth=1
	ds_read_b32 v35, v34
	s_waitcnt lgkmcnt(0)
	v_sub_u32_e32 v35, v4, v35
	s_branch .LBB124_1
.LBB124_4:
	s_add_u32 s0, s8, s10
	s_addc_u32 s1, s9, s11
	v_lshlrev_b32_e32 v0, 2, v0
	v_mov_b32_e32 v13, s1
	v_add_co_u32_e32 v18, vcc, s0, v0
	v_addc_co_u32_e32 v13, vcc, 0, v13, vcc
	global_store_dword v0, v4, s[0:1]
	global_store_dword v0, v3, s[0:1] offset:1024
	global_store_dword v0, v2, s[0:1] offset:2048
	;; [unrolled: 1-line block ×3, first 2 shown]
	v_add_co_u32_e32 v0, vcc, 0x1000, v18
	v_addc_co_u32_e32 v1, vcc, 0, v13, vcc
	global_store_dword v[0:1], v14, off
	global_store_dword v[0:1], v17, off offset:1024
	global_store_dword v[0:1], v16, off offset:2048
	global_store_dword v[0:1], v15, off offset:3072
	v_add_co_u32_e32 v0, vcc, 0x2000, v18
	v_addc_co_u32_e32 v1, vcc, 0, v13, vcc
	global_store_dword v[0:1], v8, off
	global_store_dword v[0:1], v7, off offset:1024
	global_store_dword v[0:1], v6, off offset:2048
	global_store_dword v[0:1], v5, off offset:3072
	;; [unrolled: 6-line block ×3, first 2 shown]
	s_endpgm
	.section	.rodata,"a",@progbits
	.p2align	6, 0x0
	.amdhsa_kernel _Z6kernelI26subtract_left_partial_tileLj256ELj16ELb0EJPiS1_S1_jEEvDpT3_
		.amdhsa_group_segment_fixed_size 2048
		.amdhsa_private_segment_fixed_size 0
		.amdhsa_kernarg_size 28
		.amdhsa_user_sgpr_count 6
		.amdhsa_user_sgpr_private_segment_buffer 1
		.amdhsa_user_sgpr_dispatch_ptr 0
		.amdhsa_user_sgpr_queue_ptr 0
		.amdhsa_user_sgpr_kernarg_segment_ptr 1
		.amdhsa_user_sgpr_dispatch_id 0
		.amdhsa_user_sgpr_flat_scratch_init 0
		.amdhsa_user_sgpr_kernarg_preload_length 0
		.amdhsa_user_sgpr_kernarg_preload_offset 0
		.amdhsa_user_sgpr_private_segment_size 0
		.amdhsa_uses_dynamic_stack 0
		.amdhsa_system_sgpr_private_segment_wavefront_offset 0
		.amdhsa_system_sgpr_workgroup_id_x 1
		.amdhsa_system_sgpr_workgroup_id_y 0
		.amdhsa_system_sgpr_workgroup_id_z 0
		.amdhsa_system_sgpr_workgroup_info 0
		.amdhsa_system_vgpr_workitem_id 0
		.amdhsa_next_free_vgpr 51
		.amdhsa_next_free_sgpr 14
		.amdhsa_accum_offset 52
		.amdhsa_reserve_vcc 1
		.amdhsa_reserve_flat_scratch 0
		.amdhsa_float_round_mode_32 0
		.amdhsa_float_round_mode_16_64 0
		.amdhsa_float_denorm_mode_32 3
		.amdhsa_float_denorm_mode_16_64 3
		.amdhsa_dx10_clamp 1
		.amdhsa_ieee_mode 1
		.amdhsa_fp16_overflow 0
		.amdhsa_tg_split 0
		.amdhsa_exception_fp_ieee_invalid_op 0
		.amdhsa_exception_fp_denorm_src 0
		.amdhsa_exception_fp_ieee_div_zero 0
		.amdhsa_exception_fp_ieee_overflow 0
		.amdhsa_exception_fp_ieee_underflow 0
		.amdhsa_exception_fp_ieee_inexact 0
		.amdhsa_exception_int_div_zero 0
	.end_amdhsa_kernel
	.section	.text._Z6kernelI26subtract_left_partial_tileLj256ELj16ELb0EJPiS1_S1_jEEvDpT3_,"axG",@progbits,_Z6kernelI26subtract_left_partial_tileLj256ELj16ELb0EJPiS1_S1_jEEvDpT3_,comdat
.Lfunc_end124:
	.size	_Z6kernelI26subtract_left_partial_tileLj256ELj16ELb0EJPiS1_S1_jEEvDpT3_, .Lfunc_end124-_Z6kernelI26subtract_left_partial_tileLj256ELj16ELb0EJPiS1_S1_jEEvDpT3_
                                        ; -- End function
	.section	.AMDGPU.csdata,"",@progbits
; Kernel info:
; codeLenInByte = 1088
; NumSgprs: 18
; NumVgprs: 51
; NumAgprs: 0
; TotalNumVgprs: 51
; ScratchSize: 0
; MemoryBound: 0
; FloatMode: 240
; IeeeMode: 1
; LDSByteSize: 2048 bytes/workgroup (compile time only)
; SGPRBlocks: 2
; VGPRBlocks: 6
; NumSGPRsForWavesPerEU: 18
; NumVGPRsForWavesPerEU: 51
; AccumOffset: 52
; Occupancy: 8
; WaveLimiterHint : 1
; COMPUTE_PGM_RSRC2:SCRATCH_EN: 0
; COMPUTE_PGM_RSRC2:USER_SGPR: 6
; COMPUTE_PGM_RSRC2:TRAP_HANDLER: 0
; COMPUTE_PGM_RSRC2:TGID_X_EN: 1
; COMPUTE_PGM_RSRC2:TGID_Y_EN: 0
; COMPUTE_PGM_RSRC2:TGID_Z_EN: 0
; COMPUTE_PGM_RSRC2:TIDIG_COMP_CNT: 0
; COMPUTE_PGM_RSRC3_GFX90A:ACCUM_OFFSET: 12
; COMPUTE_PGM_RSRC3_GFX90A:TG_SPLIT: 0
	.section	.text._Z6kernelI26subtract_left_partial_tileLj256ELj32ELb0EJPiS1_S1_jEEvDpT3_,"axG",@progbits,_Z6kernelI26subtract_left_partial_tileLj256ELj32ELb0EJPiS1_S1_jEEvDpT3_,comdat
	.protected	_Z6kernelI26subtract_left_partial_tileLj256ELj32ELb0EJPiS1_S1_jEEvDpT3_ ; -- Begin function _Z6kernelI26subtract_left_partial_tileLj256ELj32ELb0EJPiS1_S1_jEEvDpT3_
	.globl	_Z6kernelI26subtract_left_partial_tileLj256ELj32ELb0EJPiS1_S1_jEEvDpT3_
	.p2align	8
	.type	_Z6kernelI26subtract_left_partial_tileLj256ELj32ELb0EJPiS1_S1_jEEvDpT3_,@function
_Z6kernelI26subtract_left_partial_tileLj256ELj32ELb0EJPiS1_S1_jEEvDpT3_: ; @_Z6kernelI26subtract_left_partial_tileLj256ELj32ELb0EJPiS1_S1_jEEvDpT3_
; %bb.0:
	s_load_dwordx4 s[0:3], s[4:5], 0x0
	s_load_dwordx2 s[8:9], s[4:5], 0x10
	s_lshl_b32 s12, s6, 13
	s_mov_b32 s13, 0
	s_lshl_b64 s[10:11], s[12:13], 2
	s_waitcnt lgkmcnt(0)
	s_add_u32 s0, s0, s10
	s_addc_u32 s1, s1, s11
	v_lshlrev_b32_e32 v5, 2, v0
	v_mov_b32_e32 v1, s1
	v_add_co_u32_e32 v19, vcc, s0, v5
	v_addc_co_u32_e32 v22, vcc, 0, v1, vcc
	global_load_dword v4, v5, s[0:1]
	global_load_dword v3, v5, s[0:1] offset:1024
	global_load_dword v2, v5, s[0:1] offset:2048
	;; [unrolled: 1-line block ×3, first 2 shown]
	s_movk_i32 s0, 0x1000
	v_add_co_u32_e32 v20, vcc, s0, v19
	v_addc_co_u32_e32 v21, vcc, 0, v22, vcc
	s_movk_i32 s0, 0x2000
	v_add_co_u32_e32 v14, vcc, s0, v19
	v_addc_co_u32_e32 v15, vcc, 0, v22, vcc
	;; [unrolled: 3-line block ×5, first 2 shown]
	s_movk_i32 s0, 0x6000
	v_add_co_u32_e32 v40, vcc, s0, v19
	global_load_dword v23, v[14:15], off offset:-4096
	global_load_dword v12, v[14:15], off
	global_load_dword v11, v[14:15], off offset:1024
	global_load_dword v10, v[14:15], off offset:2048
	;; [unrolled: 1-line block ×3, first 2 shown]
	global_load_dword v8, v[36:37], off offset:-4096
	global_load_dword v7, v[36:37], off
	global_load_dword v6, v[36:37], off offset:1024
	v_addc_co_u32_e32 v41, vcc, 0, v22, vcc
	global_load_dword v33, v[20:21], off offset:1024
	global_load_dword v32, v[20:21], off offset:2048
	;; [unrolled: 1-line block ×10, first 2 shown]
	global_load_dword v24, v[40:41], off offset:-4096
	global_load_dword v16, v[40:41], off
	global_load_dword v15, v[40:41], off offset:1024
	global_load_dword v14, v[40:41], off offset:2048
	;; [unrolled: 1-line block ×3, first 2 shown]
	s_movk_i32 s0, 0x7000
	v_add_co_u32_e32 v34, vcc, s0, v19
	v_addc_co_u32_e32 v35, vcc, 0, v22, vcc
	global_load_dword v30, v[38:39], off offset:3072
	global_load_dword v22, v[34:35], off
	global_load_dword v21, v[34:35], off offset:1024
	global_load_dword v20, v[34:35], off offset:2048
	;; [unrolled: 1-line block ×3, first 2 shown]
	s_load_dword s4, s[4:5], 0x18
	s_mov_b32 s7, s13
	s_lshl_b64 s[0:1], s[6:7], 2
	s_add_u32 s0, s2, s0
	s_addc_u32 s1, s3, s1
	s_waitcnt lgkmcnt(0)
	v_cvt_f32_u32_e32 v34, s4
	s_load_dword s2, s[0:1], 0x0
	s_sub_i32 s0, 0, s4
	v_cmp_ne_u32_e32 vcc, 0, v0
	v_rcp_iflag_f32_e32 v34, v34
	v_add_u32_e32 v66, -4, v5
	v_mul_f32_e32 v34, 0x4f7ffffe, v34
	v_cvt_u32_f32_e32 v34, v34
	v_readfirstlane_b32 s1, v34
	s_mul_i32 s0, s0, s1
	s_mul_hi_u32 s0, s1, s0
	s_add_i32 s1, s1, s0
	s_lshr_b32 s0, s1, 19
	s_mul_i32 s1, s0, s4
	s_sub_i32 s1, 0x2000, s1
	s_add_i32 s3, s0, 1
	s_sub_i32 s5, s1, s4
	s_cmp_ge_u32 s1, s4
	s_cselect_b32 s0, s3, s0
	s_cselect_b32 s1, s5, s1
	s_add_i32 s3, s0, 1
	s_cmp_ge_u32 s1, s4
	s_cselect_b32 s3, s3, s0
	v_lshlrev_b32_e32 v34, 5, v0
	s_add_i32 s3, s3, 1
	v_or_b32_e32 v35, 31, v34
	v_or_b32_e32 v36, 30, v34
	;; [unrolled: 1-line block ×24, first 2 shown]
	s_max_u32 s4, s4, 1
	v_or_b32_e32 v59, 7, v34
	v_or_b32_e32 v60, 6, v34
	;; [unrolled: 1-line block ×7, first 2 shown]
	s_branch .LBB125_2
.LBB125_1:                              ;   in Loop: Header=BB125_2 Depth=1
	s_or_b64 exec, exec, s[0:1]
	v_cmp_gt_u32_e64 s[0:1], s2, v65
	v_cndmask_b32_e64 v68, 0, v4, s[0:1]
	v_cmp_gt_u32_e64 s[0:1], s2, v64
	v_add_u32_e32 v4, v67, v4
	v_sub_u32_e32 v67, v3, v68
	v_cndmask_b32_e64 v68, 0, v3, s[0:1]
	v_cmp_gt_u32_e64 s[0:1], s2, v63
	v_add_u32_e32 v3, v67, v3
	v_sub_u32_e32 v67, v2, v68
	;; [unrolled: 4-line block ×30, first 2 shown]
	v_cndmask_b32_e64 v68, 0, v20, s[0:1]
	s_add_i32 s0, s3, s2
	v_add_u32_e32 v20, v67, v20
	v_sub_u32_e32 v67, v19, v68
	s_and_b32 s2, s0, 0x1fff
	s_add_i32 s4, s4, -1
	v_add_u32_e32 v19, v67, v19
	s_cmp_lg_u32 s4, 0
	s_barrier
	s_cbranch_scc0 .LBB125_4
.LBB125_2:                              ; =>This Inner Loop Header: Depth=1
	s_waitcnt lgkmcnt(0)
	v_cmp_gt_u32_e64 s[0:1], s2, v34
	s_and_b64 s[6:7], vcc, s[0:1]
	s_waitcnt vmcnt(31)
	v_mov_b32_e32 v67, v4
	s_waitcnt vmcnt(0)
	ds_write_b32 v5, v19
	s_waitcnt lgkmcnt(0)
	s_barrier
	s_and_saveexec_b64 s[0:1], s[6:7]
	s_cbranch_execz .LBB125_1
; %bb.3:                                ;   in Loop: Header=BB125_2 Depth=1
	ds_read_b32 v67, v66
	s_waitcnt lgkmcnt(0)
	v_sub_u32_e32 v67, v4, v67
	s_branch .LBB125_1
.LBB125_4:
	s_add_u32 s0, s8, s10
	s_addc_u32 s1, s9, s11
	v_lshlrev_b32_e32 v0, 2, v0
	v_mov_b32_e32 v5, s1
	v_add_co_u32_e32 v34, vcc, s0, v0
	v_addc_co_u32_e32 v5, vcc, 0, v5, vcc
	global_store_dword v0, v4, s[0:1]
	global_store_dword v0, v3, s[0:1] offset:1024
	global_store_dword v0, v2, s[0:1] offset:2048
	;; [unrolled: 1-line block ×3, first 2 shown]
	v_add_co_u32_e32 v0, vcc, 0x1000, v34
	v_addc_co_u32_e32 v1, vcc, 0, v5, vcc
	global_store_dword v[0:1], v23, off
	global_store_dword v[0:1], v33, off offset:1024
	global_store_dword v[0:1], v32, off offset:2048
	global_store_dword v[0:1], v31, off offset:3072
	v_add_co_u32_e32 v0, vcc, 0x2000, v34
	v_addc_co_u32_e32 v1, vcc, 0, v5, vcc
	global_store_dword v[0:1], v12, off
	global_store_dword v[0:1], v11, off offset:1024
	global_store_dword v[0:1], v10, off offset:2048
	global_store_dword v[0:1], v9, off offset:3072
	;; [unrolled: 6-line block ×7, first 2 shown]
	s_endpgm
	.section	.rodata,"a",@progbits
	.p2align	6, 0x0
	.amdhsa_kernel _Z6kernelI26subtract_left_partial_tileLj256ELj32ELb0EJPiS1_S1_jEEvDpT3_
		.amdhsa_group_segment_fixed_size 2048
		.amdhsa_private_segment_fixed_size 0
		.amdhsa_kernarg_size 28
		.amdhsa_user_sgpr_count 6
		.amdhsa_user_sgpr_private_segment_buffer 1
		.amdhsa_user_sgpr_dispatch_ptr 0
		.amdhsa_user_sgpr_queue_ptr 0
		.amdhsa_user_sgpr_kernarg_segment_ptr 1
		.amdhsa_user_sgpr_dispatch_id 0
		.amdhsa_user_sgpr_flat_scratch_init 0
		.amdhsa_user_sgpr_kernarg_preload_length 0
		.amdhsa_user_sgpr_kernarg_preload_offset 0
		.amdhsa_user_sgpr_private_segment_size 0
		.amdhsa_uses_dynamic_stack 0
		.amdhsa_system_sgpr_private_segment_wavefront_offset 0
		.amdhsa_system_sgpr_workgroup_id_x 1
		.amdhsa_system_sgpr_workgroup_id_y 0
		.amdhsa_system_sgpr_workgroup_id_z 0
		.amdhsa_system_sgpr_workgroup_info 0
		.amdhsa_system_vgpr_workitem_id 0
		.amdhsa_next_free_vgpr 69
		.amdhsa_next_free_sgpr 14
		.amdhsa_accum_offset 72
		.amdhsa_reserve_vcc 1
		.amdhsa_reserve_flat_scratch 0
		.amdhsa_float_round_mode_32 0
		.amdhsa_float_round_mode_16_64 0
		.amdhsa_float_denorm_mode_32 3
		.amdhsa_float_denorm_mode_16_64 3
		.amdhsa_dx10_clamp 1
		.amdhsa_ieee_mode 1
		.amdhsa_fp16_overflow 0
		.amdhsa_tg_split 0
		.amdhsa_exception_fp_ieee_invalid_op 0
		.amdhsa_exception_fp_denorm_src 0
		.amdhsa_exception_fp_ieee_div_zero 0
		.amdhsa_exception_fp_ieee_overflow 0
		.amdhsa_exception_fp_ieee_underflow 0
		.amdhsa_exception_fp_ieee_inexact 0
		.amdhsa_exception_int_div_zero 0
	.end_amdhsa_kernel
	.section	.text._Z6kernelI26subtract_left_partial_tileLj256ELj32ELb0EJPiS1_S1_jEEvDpT3_,"axG",@progbits,_Z6kernelI26subtract_left_partial_tileLj256ELj32ELb0EJPiS1_S1_jEEvDpT3_,comdat
.Lfunc_end125:
	.size	_Z6kernelI26subtract_left_partial_tileLj256ELj32ELb0EJPiS1_S1_jEEvDpT3_, .Lfunc_end125-_Z6kernelI26subtract_left_partial_tileLj256ELj32ELb0EJPiS1_S1_jEEvDpT3_
                                        ; -- End function
	.section	.AMDGPU.csdata,"",@progbits
; Kernel info:
; codeLenInByte = 1888
; NumSgprs: 18
; NumVgprs: 69
; NumAgprs: 0
; TotalNumVgprs: 69
; ScratchSize: 0
; MemoryBound: 0
; FloatMode: 240
; IeeeMode: 1
; LDSByteSize: 2048 bytes/workgroup (compile time only)
; SGPRBlocks: 2
; VGPRBlocks: 8
; NumSGPRsForWavesPerEU: 18
; NumVGPRsForWavesPerEU: 69
; AccumOffset: 72
; Occupancy: 7
; WaveLimiterHint : 1
; COMPUTE_PGM_RSRC2:SCRATCH_EN: 0
; COMPUTE_PGM_RSRC2:USER_SGPR: 6
; COMPUTE_PGM_RSRC2:TRAP_HANDLER: 0
; COMPUTE_PGM_RSRC2:TGID_X_EN: 1
; COMPUTE_PGM_RSRC2:TGID_Y_EN: 0
; COMPUTE_PGM_RSRC2:TGID_Z_EN: 0
; COMPUTE_PGM_RSRC2:TIDIG_COMP_CNT: 0
; COMPUTE_PGM_RSRC3_GFX90A:ACCUM_OFFSET: 17
; COMPUTE_PGM_RSRC3_GFX90A:TG_SPLIT: 0
	.section	.text._Z6kernelI26subtract_left_partial_tileLj256ELj1ELb0EJPfPiS1_jEEvDpT3_,"axG",@progbits,_Z6kernelI26subtract_left_partial_tileLj256ELj1ELb0EJPfPiS1_jEEvDpT3_,comdat
	.protected	_Z6kernelI26subtract_left_partial_tileLj256ELj1ELb0EJPfPiS1_jEEvDpT3_ ; -- Begin function _Z6kernelI26subtract_left_partial_tileLj256ELj1ELb0EJPfPiS1_jEEvDpT3_
	.globl	_Z6kernelI26subtract_left_partial_tileLj256ELj1ELb0EJPfPiS1_jEEvDpT3_
	.p2align	8
	.type	_Z6kernelI26subtract_left_partial_tileLj256ELj1ELb0EJPfPiS1_jEEvDpT3_,@function
_Z6kernelI26subtract_left_partial_tileLj256ELj1ELb0EJPfPiS1_jEEvDpT3_: ; @_Z6kernelI26subtract_left_partial_tileLj256ELj1ELb0EJPfPiS1_jEEvDpT3_
; %bb.0:
	s_load_dwordx4 s[12:15], s[4:5], 0x0
	s_load_dwordx2 s[2:3], s[4:5], 0x10
	s_lshl_b32 s0, s6, 8
	s_mov_b32 s1, 0
	s_lshl_b64 s[8:9], s[0:1], 2
	s_waitcnt lgkmcnt(0)
	s_add_u32 s10, s12, s8
	s_addc_u32 s11, s13, s9
	v_lshlrev_b32_e32 v2, 2, v0
	global_load_dword v1, v2, s[10:11]
	s_load_dword s10, s[4:5], 0x18
	s_mov_b32 s7, s1
	s_lshl_b64 s[0:1], s[6:7], 2
	s_add_u32 s0, s14, s0
	s_addc_u32 s1, s15, s1
	s_waitcnt lgkmcnt(0)
	v_cvt_f32_u32_e32 v3, s10
	s_load_dword s4, s[0:1], 0x0
	s_sub_i32 s0, 0, s10
	v_cmp_ne_u32_e32 vcc, 0, v0
	v_rcp_iflag_f32_e32 v3, v3
	v_mul_f32_e32 v3, 0x4f7ffffe, v3
	v_cvt_u32_f32_e32 v3, v3
	v_readfirstlane_b32 s1, v3
	s_mul_i32 s0, s0, s1
	s_mul_hi_u32 s0, s1, s0
	s_add_i32 s1, s1, s0
	s_lshr_b32 s0, s1, 24
	s_mul_i32 s1, s0, s10
	s_sub_i32 s1, 0x100, s1
	s_add_i32 s5, s0, 1
	s_sub_i32 s6, s1, s10
	s_cmp_ge_u32 s1, s10
	s_cselect_b32 s0, s5, s0
	s_cselect_b32 s1, s6, s1
	s_add_i32 s5, s0, 1
	s_cmp_ge_u32 s1, s10
	s_cselect_b32 s5, s5, s0
	s_add_i32 s5, s5, 1
	v_add_u32_e32 v3, -4, v2
	s_max_u32 s6, s10, 1
	s_branch .LBB126_2
.LBB126_1:                              ;   in Loop: Header=BB126_2 Depth=1
	s_or_b64 exec, exec, s[0:1]
	s_add_i32 s0, s5, s4
	s_and_b32 s4, s0, 0xff
	s_add_i32 s6, s6, -1
	v_add_f32_e32 v1, v1, v4
	s_cmp_lg_u32 s6, 0
	s_barrier
	s_cbranch_scc0 .LBB126_4
.LBB126_2:                              ; =>This Inner Loop Header: Depth=1
	s_waitcnt lgkmcnt(0)
	v_cmp_gt_u32_e64 s[0:1], s4, v0
	s_and_b64 s[10:11], vcc, s[0:1]
	s_waitcnt vmcnt(0)
	v_mov_b32_e32 v4, v1
	ds_write_b32 v2, v1
	s_waitcnt lgkmcnt(0)
	s_barrier
	s_and_saveexec_b64 s[0:1], s[10:11]
	s_cbranch_execz .LBB126_1
; %bb.3:                                ;   in Loop: Header=BB126_2 Depth=1
	ds_read_b32 v4, v3
	s_waitcnt lgkmcnt(0)
	v_sub_f32_e32 v4, v1, v4
	s_branch .LBB126_1
.LBB126_4:
	s_add_u32 s0, s2, s8
	s_addc_u32 s1, s3, s9
	v_lshlrev_b32_e32 v0, 2, v0
	global_store_dword v0, v1, s[0:1]
	s_endpgm
	.section	.rodata,"a",@progbits
	.p2align	6, 0x0
	.amdhsa_kernel _Z6kernelI26subtract_left_partial_tileLj256ELj1ELb0EJPfPiS1_jEEvDpT3_
		.amdhsa_group_segment_fixed_size 2048
		.amdhsa_private_segment_fixed_size 0
		.amdhsa_kernarg_size 28
		.amdhsa_user_sgpr_count 6
		.amdhsa_user_sgpr_private_segment_buffer 1
		.amdhsa_user_sgpr_dispatch_ptr 0
		.amdhsa_user_sgpr_queue_ptr 0
		.amdhsa_user_sgpr_kernarg_segment_ptr 1
		.amdhsa_user_sgpr_dispatch_id 0
		.amdhsa_user_sgpr_flat_scratch_init 0
		.amdhsa_user_sgpr_kernarg_preload_length 0
		.amdhsa_user_sgpr_kernarg_preload_offset 0
		.amdhsa_user_sgpr_private_segment_size 0
		.amdhsa_uses_dynamic_stack 0
		.amdhsa_system_sgpr_private_segment_wavefront_offset 0
		.amdhsa_system_sgpr_workgroup_id_x 1
		.amdhsa_system_sgpr_workgroup_id_y 0
		.amdhsa_system_sgpr_workgroup_id_z 0
		.amdhsa_system_sgpr_workgroup_info 0
		.amdhsa_system_vgpr_workitem_id 0
		.amdhsa_next_free_vgpr 5
		.amdhsa_next_free_sgpr 16
		.amdhsa_accum_offset 8
		.amdhsa_reserve_vcc 1
		.amdhsa_reserve_flat_scratch 0
		.amdhsa_float_round_mode_32 0
		.amdhsa_float_round_mode_16_64 0
		.amdhsa_float_denorm_mode_32 3
		.amdhsa_float_denorm_mode_16_64 3
		.amdhsa_dx10_clamp 1
		.amdhsa_ieee_mode 1
		.amdhsa_fp16_overflow 0
		.amdhsa_tg_split 0
		.amdhsa_exception_fp_ieee_invalid_op 0
		.amdhsa_exception_fp_denorm_src 0
		.amdhsa_exception_fp_ieee_div_zero 0
		.amdhsa_exception_fp_ieee_overflow 0
		.amdhsa_exception_fp_ieee_underflow 0
		.amdhsa_exception_fp_ieee_inexact 0
		.amdhsa_exception_int_div_zero 0
	.end_amdhsa_kernel
	.section	.text._Z6kernelI26subtract_left_partial_tileLj256ELj1ELb0EJPfPiS1_jEEvDpT3_,"axG",@progbits,_Z6kernelI26subtract_left_partial_tileLj256ELj1ELb0EJPfPiS1_jEEvDpT3_,comdat
.Lfunc_end126:
	.size	_Z6kernelI26subtract_left_partial_tileLj256ELj1ELb0EJPfPiS1_jEEvDpT3_, .Lfunc_end126-_Z6kernelI26subtract_left_partial_tileLj256ELj1ELb0EJPfPiS1_jEEvDpT3_
                                        ; -- End function
	.section	.AMDGPU.csdata,"",@progbits
; Kernel info:
; codeLenInByte = 324
; NumSgprs: 20
; NumVgprs: 5
; NumAgprs: 0
; TotalNumVgprs: 5
; ScratchSize: 0
; MemoryBound: 0
; FloatMode: 240
; IeeeMode: 1
; LDSByteSize: 2048 bytes/workgroup (compile time only)
; SGPRBlocks: 2
; VGPRBlocks: 0
; NumSGPRsForWavesPerEU: 20
; NumVGPRsForWavesPerEU: 5
; AccumOffset: 8
; Occupancy: 8
; WaveLimiterHint : 0
; COMPUTE_PGM_RSRC2:SCRATCH_EN: 0
; COMPUTE_PGM_RSRC2:USER_SGPR: 6
; COMPUTE_PGM_RSRC2:TRAP_HANDLER: 0
; COMPUTE_PGM_RSRC2:TGID_X_EN: 1
; COMPUTE_PGM_RSRC2:TGID_Y_EN: 0
; COMPUTE_PGM_RSRC2:TGID_Z_EN: 0
; COMPUTE_PGM_RSRC2:TIDIG_COMP_CNT: 0
; COMPUTE_PGM_RSRC3_GFX90A:ACCUM_OFFSET: 1
; COMPUTE_PGM_RSRC3_GFX90A:TG_SPLIT: 0
	.section	.text._Z6kernelI26subtract_left_partial_tileLj256ELj3ELb0EJPfPiS1_jEEvDpT3_,"axG",@progbits,_Z6kernelI26subtract_left_partial_tileLj256ELj3ELb0EJPfPiS1_jEEvDpT3_,comdat
	.protected	_Z6kernelI26subtract_left_partial_tileLj256ELj3ELb0EJPfPiS1_jEEvDpT3_ ; -- Begin function _Z6kernelI26subtract_left_partial_tileLj256ELj3ELb0EJPfPiS1_jEEvDpT3_
	.globl	_Z6kernelI26subtract_left_partial_tileLj256ELj3ELb0EJPfPiS1_jEEvDpT3_
	.p2align	8
	.type	_Z6kernelI26subtract_left_partial_tileLj256ELj3ELb0EJPfPiS1_jEEvDpT3_,@function
_Z6kernelI26subtract_left_partial_tileLj256ELj3ELb0EJPfPiS1_jEEvDpT3_: ; @_Z6kernelI26subtract_left_partial_tileLj256ELj3ELb0EJPfPiS1_jEEvDpT3_
; %bb.0:
	s_load_dwordx4 s[12:15], s[4:5], 0x0
	s_load_dwordx2 s[2:3], s[4:5], 0x10
	s_mul_i32 s0, s6, 0x300
	s_mov_b32 s1, 0
	s_lshl_b64 s[8:9], s[0:1], 2
	s_waitcnt lgkmcnt(0)
	s_add_u32 s10, s12, s8
	s_addc_u32 s11, s13, s9
	v_lshlrev_b32_e32 v7, 2, v0
	global_load_dword v2, v7, s[10:11]
	global_load_dword v1, v7, s[10:11] offset:1024
	global_load_dword v3, v7, s[10:11] offset:2048
	s_load_dword s10, s[4:5], 0x18
	s_mov_b32 s7, s1
	s_lshl_b64 s[0:1], s[6:7], 2
	s_add_u32 s0, s14, s0
	s_addc_u32 s1, s15, s1
	s_waitcnt lgkmcnt(0)
	v_cvt_f32_u32_e32 v4, s10
	s_load_dword s4, s[0:1], 0x0
	s_sub_i32 s0, 0, s10
	v_mul_u32_u24_e32 v8, 3, v0
	v_rcp_iflag_f32_e32 v4, v4
	v_mad_u32_u24 v9, v0, 3, 2
	v_mad_u32_u24 v10, v0, 3, 1
	v_cmp_ne_u32_e32 vcc, 0, v0
	v_mul_f32_e32 v4, 0x4f7ffffe, v4
	v_cvt_u32_f32_e32 v4, v4
	v_add_u32_e32 v11, -4, v7
	v_readfirstlane_b32 s1, v4
	s_mul_i32 s0, s0, s1
	s_mul_hi_u32 s0, s1, s0
	s_add_i32 s1, s1, s0
	s_mul_hi_u32 s0, s1, 0x300
	s_mul_i32 s1, s0, s10
	s_sub_i32 s1, 0x300, s1
	s_add_i32 s5, s0, 1
	s_sub_i32 s6, s1, s10
	s_cmp_ge_u32 s1, s10
	s_cselect_b32 s0, s5, s0
	s_cselect_b32 s1, s6, s1
	s_add_i32 s5, s0, 1
	s_cmp_ge_u32 s1, s10
	s_cselect_b32 s5, s5, s0
	s_add_i32 s5, s5, 1
	s_max_u32 s6, s10, 1
	s_branch .LBB127_2
.LBB127_1:                              ;   in Loop: Header=BB127_2 Depth=1
	s_or_b64 exec, exec, s[0:1]
	s_add_i32 s0, s5, s4
	s_mul_hi_u32 s1, s0, 0xaaaaaaab
	s_lshr_b32 s1, s1, 9
	s_mulk_i32 s1, 0x300
	s_sub_i32 s4, s0, s1
	s_add_i32 s6, s6, -1
	v_add_f32_e32 v1, v1, v13
	v_add_f32_e32 v2, v2, v4
	;; [unrolled: 1-line block ×3, first 2 shown]
	s_cmp_lg_u32 s6, 0
	s_barrier
	s_cbranch_scc0 .LBB127_4
.LBB127_2:                              ; =>This Inner Loop Header: Depth=1
	s_waitcnt vmcnt(0)
	v_sub_f32_e32 v4, v3, v1
	s_waitcnt lgkmcnt(0)
	v_cmp_gt_u32_e64 s[0:1], s4, v9
	v_cndmask_b32_e64 v12, v3, v4, s[0:1]
	v_sub_f32_e32 v4, v1, v2
	v_cmp_gt_u32_e64 s[0:1], s4, v10
	v_cndmask_b32_e64 v13, v1, v4, s[0:1]
	v_cmp_gt_u32_e64 s[0:1], s4, v8
	v_mov_b32_e32 v6, v4
	s_and_b64 s[10:11], vcc, s[0:1]
	v_mov_b32_e32 v5, v3
	v_mov_b32_e32 v4, v2
	ds_write_b32 v7, v3
	s_waitcnt lgkmcnt(0)
	s_barrier
	s_and_saveexec_b64 s[0:1], s[10:11]
	s_cbranch_execz .LBB127_1
; %bb.3:                                ;   in Loop: Header=BB127_2 Depth=1
	ds_read_b32 v4, v11
	s_waitcnt lgkmcnt(0)
	v_sub_f32_e32 v4, v2, v4
	s_branch .LBB127_1
.LBB127_4:
	s_add_u32 s0, s2, s8
	s_addc_u32 s1, s3, s9
	v_lshlrev_b32_e32 v0, 2, v0
	global_store_dword v0, v2, s[0:1]
	global_store_dword v0, v1, s[0:1] offset:1024
	global_store_dword v0, v3, s[0:1] offset:2048
	s_endpgm
	.section	.rodata,"a",@progbits
	.p2align	6, 0x0
	.amdhsa_kernel _Z6kernelI26subtract_left_partial_tileLj256ELj3ELb0EJPfPiS1_jEEvDpT3_
		.amdhsa_group_segment_fixed_size 2048
		.amdhsa_private_segment_fixed_size 0
		.amdhsa_kernarg_size 28
		.amdhsa_user_sgpr_count 6
		.amdhsa_user_sgpr_private_segment_buffer 1
		.amdhsa_user_sgpr_dispatch_ptr 0
		.amdhsa_user_sgpr_queue_ptr 0
		.amdhsa_user_sgpr_kernarg_segment_ptr 1
		.amdhsa_user_sgpr_dispatch_id 0
		.amdhsa_user_sgpr_flat_scratch_init 0
		.amdhsa_user_sgpr_kernarg_preload_length 0
		.amdhsa_user_sgpr_kernarg_preload_offset 0
		.amdhsa_user_sgpr_private_segment_size 0
		.amdhsa_uses_dynamic_stack 0
		.amdhsa_system_sgpr_private_segment_wavefront_offset 0
		.amdhsa_system_sgpr_workgroup_id_x 1
		.amdhsa_system_sgpr_workgroup_id_y 0
		.amdhsa_system_sgpr_workgroup_id_z 0
		.amdhsa_system_sgpr_workgroup_info 0
		.amdhsa_system_vgpr_workitem_id 0
		.amdhsa_next_free_vgpr 14
		.amdhsa_next_free_sgpr 16
		.amdhsa_accum_offset 16
		.amdhsa_reserve_vcc 1
		.amdhsa_reserve_flat_scratch 0
		.amdhsa_float_round_mode_32 0
		.amdhsa_float_round_mode_16_64 0
		.amdhsa_float_denorm_mode_32 3
		.amdhsa_float_denorm_mode_16_64 3
		.amdhsa_dx10_clamp 1
		.amdhsa_ieee_mode 1
		.amdhsa_fp16_overflow 0
		.amdhsa_tg_split 0
		.amdhsa_exception_fp_ieee_invalid_op 0
		.amdhsa_exception_fp_denorm_src 0
		.amdhsa_exception_fp_ieee_div_zero 0
		.amdhsa_exception_fp_ieee_overflow 0
		.amdhsa_exception_fp_ieee_underflow 0
		.amdhsa_exception_fp_ieee_inexact 0
		.amdhsa_exception_int_div_zero 0
	.end_amdhsa_kernel
	.section	.text._Z6kernelI26subtract_left_partial_tileLj256ELj3ELb0EJPfPiS1_jEEvDpT3_,"axG",@progbits,_Z6kernelI26subtract_left_partial_tileLj256ELj3ELb0EJPfPiS1_jEEvDpT3_,comdat
.Lfunc_end127:
	.size	_Z6kernelI26subtract_left_partial_tileLj256ELj3ELb0EJPfPiS1_jEEvDpT3_, .Lfunc_end127-_Z6kernelI26subtract_left_partial_tileLj256ELj3ELb0EJPfPiS1_jEEvDpT3_
                                        ; -- End function
	.section	.AMDGPU.csdata,"",@progbits
; Kernel info:
; codeLenInByte = 452
; NumSgprs: 20
; NumVgprs: 14
; NumAgprs: 0
; TotalNumVgprs: 14
; ScratchSize: 0
; MemoryBound: 0
; FloatMode: 240
; IeeeMode: 1
; LDSByteSize: 2048 bytes/workgroup (compile time only)
; SGPRBlocks: 2
; VGPRBlocks: 1
; NumSGPRsForWavesPerEU: 20
; NumVGPRsForWavesPerEU: 14
; AccumOffset: 16
; Occupancy: 8
; WaveLimiterHint : 1
; COMPUTE_PGM_RSRC2:SCRATCH_EN: 0
; COMPUTE_PGM_RSRC2:USER_SGPR: 6
; COMPUTE_PGM_RSRC2:TRAP_HANDLER: 0
; COMPUTE_PGM_RSRC2:TGID_X_EN: 1
; COMPUTE_PGM_RSRC2:TGID_Y_EN: 0
; COMPUTE_PGM_RSRC2:TGID_Z_EN: 0
; COMPUTE_PGM_RSRC2:TIDIG_COMP_CNT: 0
; COMPUTE_PGM_RSRC3_GFX90A:ACCUM_OFFSET: 3
; COMPUTE_PGM_RSRC3_GFX90A:TG_SPLIT: 0
	.section	.text._Z6kernelI26subtract_left_partial_tileLj256ELj4ELb0EJPfPiS1_jEEvDpT3_,"axG",@progbits,_Z6kernelI26subtract_left_partial_tileLj256ELj4ELb0EJPfPiS1_jEEvDpT3_,comdat
	.protected	_Z6kernelI26subtract_left_partial_tileLj256ELj4ELb0EJPfPiS1_jEEvDpT3_ ; -- Begin function _Z6kernelI26subtract_left_partial_tileLj256ELj4ELb0EJPfPiS1_jEEvDpT3_
	.globl	_Z6kernelI26subtract_left_partial_tileLj256ELj4ELb0EJPfPiS1_jEEvDpT3_
	.p2align	8
	.type	_Z6kernelI26subtract_left_partial_tileLj256ELj4ELb0EJPfPiS1_jEEvDpT3_,@function
_Z6kernelI26subtract_left_partial_tileLj256ELj4ELb0EJPfPiS1_jEEvDpT3_: ; @_Z6kernelI26subtract_left_partial_tileLj256ELj4ELb0EJPfPiS1_jEEvDpT3_
; %bb.0:
	s_load_dwordx4 s[12:15], s[4:5], 0x0
	s_load_dwordx2 s[2:3], s[4:5], 0x10
	s_lshl_b32 s0, s6, 10
	s_mov_b32 s1, 0
	s_lshl_b64 s[8:9], s[0:1], 2
	s_waitcnt lgkmcnt(0)
	s_add_u32 s10, s12, s8
	s_addc_u32 s11, s13, s9
	v_lshlrev_b32_e32 v1, 2, v0
	global_load_dword v2, v1, s[10:11]
	global_load_dword v3, v1, s[10:11] offset:1024
	global_load_dword v4, v1, s[10:11] offset:2048
	global_load_dword v5, v1, s[10:11] offset:3072
	s_load_dword s10, s[4:5], 0x18
	s_mov_b32 s7, s1
	s_lshl_b64 s[0:1], s[6:7], 2
	s_add_u32 s0, s14, s0
	s_addc_u32 s1, s15, s1
	s_waitcnt lgkmcnt(0)
	v_cvt_f32_u32_e32 v6, s10
	s_load_dword s4, s[0:1], 0x0
	s_sub_i32 s0, 0, s10
	v_or_b32_e32 v12, 3, v1
	v_rcp_iflag_f32_e32 v6, v6
	v_or_b32_e32 v13, 2, v1
	v_or_b32_e32 v14, 1, v1
	v_cmp_ne_u32_e32 vcc, 0, v0
	v_mul_f32_e32 v6, 0x4f7ffffe, v6
	v_cvt_u32_f32_e32 v6, v6
	v_add_u32_e32 v15, -4, v1
	v_readfirstlane_b32 s1, v6
	s_mul_i32 s0, s0, s1
	s_mul_hi_u32 s0, s1, s0
	s_add_i32 s1, s1, s0
	s_lshr_b32 s0, s1, 22
	s_mul_i32 s1, s0, s10
	s_sub_i32 s1, 0x400, s1
	s_add_i32 s5, s0, 1
	s_sub_i32 s6, s1, s10
	s_cmp_ge_u32 s1, s10
	s_cselect_b32 s0, s5, s0
	s_cselect_b32 s1, s6, s1
	s_add_i32 s5, s0, 1
	s_cmp_ge_u32 s1, s10
	s_cselect_b32 s5, s5, s0
	s_add_i32 s5, s5, 1
	s_max_u32 s6, s10, 1
	s_branch .LBB128_2
.LBB128_1:                              ;   in Loop: Header=BB128_2 Depth=1
	s_or_b64 exec, exec, s[0:1]
	s_add_i32 s0, s5, s4
	v_mov_b32_e32 v7, v16
	s_and_b32 s4, s0, 0x3ff
	s_add_i32 s6, s6, -1
	v_pk_add_f32 v[4:5], v[4:5], v[10:11]
	v_pk_add_f32 v[2:3], v[2:3], v[6:7]
	s_cmp_lg_u32 s6, 0
	s_barrier
	s_cbranch_scc0 .LBB128_4
.LBB128_2:                              ; =>This Inner Loop Header: Depth=1
	s_waitcnt vmcnt(0)
	v_sub_f32_e32 v6, v5, v4
	s_waitcnt lgkmcnt(0)
	v_cmp_gt_u32_e64 s[0:1], s4, v12
	v_cndmask_b32_e64 v11, v5, v6, s[0:1]
	v_sub_f32_e32 v6, v4, v3
	v_cmp_gt_u32_e64 s[0:1], s4, v13
	v_cndmask_b32_e64 v10, v4, v6, s[0:1]
	v_sub_f32_e32 v6, v3, v2
	v_cmp_gt_u32_e64 s[0:1], s4, v14
	v_cndmask_b32_e64 v16, v3, v6, s[0:1]
	v_cmp_gt_u32_e64 s[0:1], s4, v1
	v_pk_mov_b32 v[8:9], v[4:5], v[4:5] op_sel:[0,1]
	s_and_b64 s[10:11], vcc, s[0:1]
	v_pk_mov_b32 v[6:7], v[2:3], v[2:3] op_sel:[0,1]
	ds_write_b32 v1, v5
	s_waitcnt lgkmcnt(0)
	s_barrier
	s_and_saveexec_b64 s[0:1], s[10:11]
	s_cbranch_execz .LBB128_1
; %bb.3:                                ;   in Loop: Header=BB128_2 Depth=1
	ds_read_b32 v6, v15
	s_waitcnt lgkmcnt(0)
	v_sub_f32_e32 v6, v2, v6
	s_branch .LBB128_1
.LBB128_4:
	s_add_u32 s0, s2, s8
	s_addc_u32 s1, s3, s9
	v_lshlrev_b32_e32 v0, 2, v0
	global_store_dword v0, v2, s[0:1]
	global_store_dword v0, v3, s[0:1] offset:1024
	global_store_dword v0, v4, s[0:1] offset:2048
	;; [unrolled: 1-line block ×3, first 2 shown]
	s_endpgm
	.section	.rodata,"a",@progbits
	.p2align	6, 0x0
	.amdhsa_kernel _Z6kernelI26subtract_left_partial_tileLj256ELj4ELb0EJPfPiS1_jEEvDpT3_
		.amdhsa_group_segment_fixed_size 2048
		.amdhsa_private_segment_fixed_size 0
		.amdhsa_kernarg_size 28
		.amdhsa_user_sgpr_count 6
		.amdhsa_user_sgpr_private_segment_buffer 1
		.amdhsa_user_sgpr_dispatch_ptr 0
		.amdhsa_user_sgpr_queue_ptr 0
		.amdhsa_user_sgpr_kernarg_segment_ptr 1
		.amdhsa_user_sgpr_dispatch_id 0
		.amdhsa_user_sgpr_flat_scratch_init 0
		.amdhsa_user_sgpr_kernarg_preload_length 0
		.amdhsa_user_sgpr_kernarg_preload_offset 0
		.amdhsa_user_sgpr_private_segment_size 0
		.amdhsa_uses_dynamic_stack 0
		.amdhsa_system_sgpr_private_segment_wavefront_offset 0
		.amdhsa_system_sgpr_workgroup_id_x 1
		.amdhsa_system_sgpr_workgroup_id_y 0
		.amdhsa_system_sgpr_workgroup_id_z 0
		.amdhsa_system_sgpr_workgroup_info 0
		.amdhsa_system_vgpr_workitem_id 0
		.amdhsa_next_free_vgpr 17
		.amdhsa_next_free_sgpr 16
		.amdhsa_accum_offset 20
		.amdhsa_reserve_vcc 1
		.amdhsa_reserve_flat_scratch 0
		.amdhsa_float_round_mode_32 0
		.amdhsa_float_round_mode_16_64 0
		.amdhsa_float_denorm_mode_32 3
		.amdhsa_float_denorm_mode_16_64 3
		.amdhsa_dx10_clamp 1
		.amdhsa_ieee_mode 1
		.amdhsa_fp16_overflow 0
		.amdhsa_tg_split 0
		.amdhsa_exception_fp_ieee_invalid_op 0
		.amdhsa_exception_fp_denorm_src 0
		.amdhsa_exception_fp_ieee_div_zero 0
		.amdhsa_exception_fp_ieee_overflow 0
		.amdhsa_exception_fp_ieee_underflow 0
		.amdhsa_exception_fp_ieee_inexact 0
		.amdhsa_exception_int_div_zero 0
	.end_amdhsa_kernel
	.section	.text._Z6kernelI26subtract_left_partial_tileLj256ELj4ELb0EJPfPiS1_jEEvDpT3_,"axG",@progbits,_Z6kernelI26subtract_left_partial_tileLj256ELj4ELb0EJPfPiS1_jEEvDpT3_,comdat
.Lfunc_end128:
	.size	_Z6kernelI26subtract_left_partial_tileLj256ELj4ELb0EJPfPiS1_jEEvDpT3_, .Lfunc_end128-_Z6kernelI26subtract_left_partial_tileLj256ELj4ELb0EJPfPiS1_jEEvDpT3_
                                        ; -- End function
	.section	.AMDGPU.csdata,"",@progbits
; Kernel info:
; codeLenInByte = 472
; NumSgprs: 20
; NumVgprs: 17
; NumAgprs: 0
; TotalNumVgprs: 17
; ScratchSize: 0
; MemoryBound: 0
; FloatMode: 240
; IeeeMode: 1
; LDSByteSize: 2048 bytes/workgroup (compile time only)
; SGPRBlocks: 2
; VGPRBlocks: 2
; NumSGPRsForWavesPerEU: 20
; NumVGPRsForWavesPerEU: 17
; AccumOffset: 20
; Occupancy: 8
; WaveLimiterHint : 1
; COMPUTE_PGM_RSRC2:SCRATCH_EN: 0
; COMPUTE_PGM_RSRC2:USER_SGPR: 6
; COMPUTE_PGM_RSRC2:TRAP_HANDLER: 0
; COMPUTE_PGM_RSRC2:TGID_X_EN: 1
; COMPUTE_PGM_RSRC2:TGID_Y_EN: 0
; COMPUTE_PGM_RSRC2:TGID_Z_EN: 0
; COMPUTE_PGM_RSRC2:TIDIG_COMP_CNT: 0
; COMPUTE_PGM_RSRC3_GFX90A:ACCUM_OFFSET: 4
; COMPUTE_PGM_RSRC3_GFX90A:TG_SPLIT: 0
	.section	.text._Z6kernelI26subtract_left_partial_tileLj256ELj8ELb0EJPfPiS1_jEEvDpT3_,"axG",@progbits,_Z6kernelI26subtract_left_partial_tileLj256ELj8ELb0EJPfPiS1_jEEvDpT3_,comdat
	.protected	_Z6kernelI26subtract_left_partial_tileLj256ELj8ELb0EJPfPiS1_jEEvDpT3_ ; -- Begin function _Z6kernelI26subtract_left_partial_tileLj256ELj8ELb0EJPfPiS1_jEEvDpT3_
	.globl	_Z6kernelI26subtract_left_partial_tileLj256ELj8ELb0EJPfPiS1_jEEvDpT3_
	.p2align	8
	.type	_Z6kernelI26subtract_left_partial_tileLj256ELj8ELb0EJPfPiS1_jEEvDpT3_,@function
_Z6kernelI26subtract_left_partial_tileLj256ELj8ELb0EJPfPiS1_jEEvDpT3_: ; @_Z6kernelI26subtract_left_partial_tileLj256ELj8ELb0EJPfPiS1_jEEvDpT3_
; %bb.0:
	s_load_dwordx4 s[0:3], s[4:5], 0x0
	s_load_dwordx2 s[8:9], s[4:5], 0x10
	s_lshl_b32 s12, s6, 11
	s_mov_b32 s13, 0
	s_lshl_b64 s[10:11], s[12:13], 2
	s_waitcnt lgkmcnt(0)
	s_add_u32 s0, s0, s10
	s_addc_u32 s1, s1, s11
	v_lshlrev_b32_e32 v19, 2, v0
	v_mov_b32_e32 v1, s1
	v_add_co_u32_e32 v3, vcc, s0, v19
	v_addc_co_u32_e32 v1, vcc, 0, v1, vcc
	global_load_dword v2, v19, s[0:1]
	global_load_dword v10, v19, s[0:1] offset:1024
	global_load_dword v4, v19, s[0:1] offset:2048
	;; [unrolled: 1-line block ×3, first 2 shown]
	s_movk_i32 s0, 0x1000
	v_add_co_u32_e32 v14, vcc, s0, v3
	v_addc_co_u32_e32 v15, vcc, 0, v1, vcc
	global_load_dword v6, v[14:15], off
	global_load_dword v20, v[14:15], off offset:1024
	global_load_dword v8, v[14:15], off offset:2048
	;; [unrolled: 1-line block ×3, first 2 shown]
	s_load_dword s4, s[4:5], 0x18
	s_mov_b32 s7, s13
	s_lshl_b64 s[0:1], s[6:7], 2
	s_add_u32 s0, s2, s0
	s_addc_u32 s1, s3, s1
	s_waitcnt lgkmcnt(0)
	v_cvt_f32_u32_e32 v1, s4
	s_load_dword s2, s[0:1], 0x0
	s_sub_i32 s0, 0, s4
	v_lshlrev_b32_e32 v24, 3, v0
	v_rcp_iflag_f32_e32 v1, v1
	v_or_b32_e32 v14, 6, v24
	v_or_b32_e32 v15, 5, v24
	;; [unrolled: 1-line block ×3, first 2 shown]
	v_mul_f32_e32 v1, 0x4f7ffffe, v1
	v_cvt_u32_f32_e32 v1, v1
	v_or_b32_e32 v17, 3, v24
	v_or_b32_e32 v18, 2, v24
	;; [unrolled: 1-line block ×3, first 2 shown]
	v_readfirstlane_b32 s1, v1
	s_mul_i32 s0, s0, s1
	s_mul_hi_u32 s0, s1, s0
	s_add_i32 s1, s1, s0
	s_lshr_b32 s0, s1, 21
	s_mul_i32 s1, s0, s4
	s_sub_i32 s1, 0x800, s1
	s_add_i32 s3, s0, 1
	s_sub_i32 s5, s1, s4
	s_cmp_ge_u32 s1, s4
	s_cselect_b32 s0, s3, s0
	s_cselect_b32 s1, s5, s1
	s_add_i32 s3, s0, 1
	s_cmp_ge_u32 s1, s4
	s_cselect_b32 s3, s3, s0
	s_add_i32 s3, s3, 1
	v_or_b32_e32 v1, 7, v24
	v_cmp_ne_u32_e32 vcc, 0, v0
	v_add_u32_e32 v26, -4, v19
	s_max_u32 s4, s4, 1
	s_branch .LBB129_2
.LBB129_1:                              ;   in Loop: Header=BB129_2 Depth=1
	s_or_b64 exec, exec, s[0:1]
	v_mov_b32_e32 v21, v8
	v_pk_add_f32 v[28:29], v[8:9], v[20:21] neg_lo:[0,1] neg_hi:[0,1]
	v_cmp_gt_u32_e64 s[0:1], s2, v1
	v_cndmask_b32_e64 v29, v9, v29, s[0:1]
	v_cmp_gt_u32_e64 s[0:1], s2, v14
	v_mov_b32_e32 v7, v20
	v_mov_b32_e32 v13, v6
	v_cndmask_b32_e64 v28, v8, v28, s[0:1]
	v_pk_add_f32 v[30:31], v[6:7], v[12:13] neg_lo:[0,1] neg_hi:[0,1]
	v_cmp_gt_u32_e64 s[0:1], s2, v15
	v_cndmask_b32_e64 v21, v20, v31, s[0:1]
	v_cmp_gt_u32_e64 s[0:1], s2, v16
	v_mov_b32_e32 v5, v12
	v_mov_b32_e32 v11, v4
	v_cndmask_b32_e64 v20, v6, v30, s[0:1]
	v_pk_add_f32 v[30:31], v[4:5], v[10:11] neg_lo:[0,1] neg_hi:[0,1]
	v_cmp_gt_u32_e64 s[0:1], s2, v17
	v_cndmask_b32_e64 v13, v12, v31, s[0:1]
	v_cmp_gt_u32_e64 s[0:1], s2, v18
	v_cndmask_b32_e64 v12, v4, v30, s[0:1]
	v_sub_f32_e32 v3, v10, v2
	v_cmp_gt_u32_e64 s[0:1], s2, v25
	v_cndmask_b32_e64 v23, v10, v3, s[0:1]
	v_mov_b32_e32 v3, v10
	s_add_i32 s0, s3, s2
	v_pk_add_f32 v[2:3], v[2:3], v[22:23]
	v_pk_add_f32 v[4:5], v[4:5], v[12:13]
	;; [unrolled: 1-line block ×3, first 2 shown]
	s_and_b32 s2, s0, 0x7ff
	s_add_i32 s4, s4, -1
	v_pk_add_f32 v[8:9], v[8:9], v[28:29]
	s_cmp_lg_u32 s4, 0
	v_mov_b32_e32 v10, v3
	v_mov_b32_e32 v12, v5
	;; [unrolled: 1-line block ×3, first 2 shown]
	s_barrier
	s_cbranch_scc0 .LBB129_4
.LBB129_2:                              ; =>This Inner Loop Header: Depth=1
	s_waitcnt lgkmcnt(0)
	v_cmp_gt_u32_e64 s[0:1], s2, v24
	s_and_b64 s[6:7], vcc, s[0:1]
	s_waitcnt vmcnt(7)
	v_mov_b32_e32 v22, v2
	s_waitcnt vmcnt(0)
	ds_write_b32 v19, v9
	s_waitcnt lgkmcnt(0)
	s_barrier
	s_and_saveexec_b64 s[0:1], s[6:7]
	s_cbranch_execz .LBB129_1
; %bb.3:                                ;   in Loop: Header=BB129_2 Depth=1
	ds_read_b32 v3, v26
	s_waitcnt lgkmcnt(0)
	v_sub_f32_e32 v22, v2, v3
	s_branch .LBB129_1
.LBB129_4:
	s_add_u32 s0, s8, s10
	s_addc_u32 s1, s9, s11
	v_lshlrev_b32_e32 v0, 2, v0
	v_mov_b32_e32 v1, s1
	v_add_co_u32_e32 v10, vcc, s0, v0
	v_addc_co_u32_e32 v1, vcc, 0, v1, vcc
	global_store_dword v0, v2, s[0:1]
	global_store_dword v0, v3, s[0:1] offset:1024
	global_store_dword v0, v4, s[0:1] offset:2048
	;; [unrolled: 1-line block ×3, first 2 shown]
	v_add_co_u32_e32 v0, vcc, 0x1000, v10
	v_addc_co_u32_e32 v1, vcc, 0, v1, vcc
	global_store_dword v[0:1], v6, off
	global_store_dword v[0:1], v7, off offset:1024
	global_store_dword v[0:1], v8, off offset:2048
	;; [unrolled: 1-line block ×3, first 2 shown]
	s_endpgm
	.section	.rodata,"a",@progbits
	.p2align	6, 0x0
	.amdhsa_kernel _Z6kernelI26subtract_left_partial_tileLj256ELj8ELb0EJPfPiS1_jEEvDpT3_
		.amdhsa_group_segment_fixed_size 2048
		.amdhsa_private_segment_fixed_size 0
		.amdhsa_kernarg_size 28
		.amdhsa_user_sgpr_count 6
		.amdhsa_user_sgpr_private_segment_buffer 1
		.amdhsa_user_sgpr_dispatch_ptr 0
		.amdhsa_user_sgpr_queue_ptr 0
		.amdhsa_user_sgpr_kernarg_segment_ptr 1
		.amdhsa_user_sgpr_dispatch_id 0
		.amdhsa_user_sgpr_flat_scratch_init 0
		.amdhsa_user_sgpr_kernarg_preload_length 0
		.amdhsa_user_sgpr_kernarg_preload_offset 0
		.amdhsa_user_sgpr_private_segment_size 0
		.amdhsa_uses_dynamic_stack 0
		.amdhsa_system_sgpr_private_segment_wavefront_offset 0
		.amdhsa_system_sgpr_workgroup_id_x 1
		.amdhsa_system_sgpr_workgroup_id_y 0
		.amdhsa_system_sgpr_workgroup_id_z 0
		.amdhsa_system_sgpr_workgroup_info 0
		.amdhsa_system_vgpr_workitem_id 0
		.amdhsa_next_free_vgpr 32
		.amdhsa_next_free_sgpr 14
		.amdhsa_accum_offset 32
		.amdhsa_reserve_vcc 1
		.amdhsa_reserve_flat_scratch 0
		.amdhsa_float_round_mode_32 0
		.amdhsa_float_round_mode_16_64 0
		.amdhsa_float_denorm_mode_32 3
		.amdhsa_float_denorm_mode_16_64 3
		.amdhsa_dx10_clamp 1
		.amdhsa_ieee_mode 1
		.amdhsa_fp16_overflow 0
		.amdhsa_tg_split 0
		.amdhsa_exception_fp_ieee_invalid_op 0
		.amdhsa_exception_fp_denorm_src 0
		.amdhsa_exception_fp_ieee_div_zero 0
		.amdhsa_exception_fp_ieee_overflow 0
		.amdhsa_exception_fp_ieee_underflow 0
		.amdhsa_exception_fp_ieee_inexact 0
		.amdhsa_exception_int_div_zero 0
	.end_amdhsa_kernel
	.section	.text._Z6kernelI26subtract_left_partial_tileLj256ELj8ELb0EJPfPiS1_jEEvDpT3_,"axG",@progbits,_Z6kernelI26subtract_left_partial_tileLj256ELj8ELb0EJPfPiS1_jEEvDpT3_,comdat
.Lfunc_end129:
	.size	_Z6kernelI26subtract_left_partial_tileLj256ELj8ELb0EJPfPiS1_jEEvDpT3_, .Lfunc_end129-_Z6kernelI26subtract_left_partial_tileLj256ELj8ELb0EJPfPiS1_jEEvDpT3_
                                        ; -- End function
	.section	.AMDGPU.csdata,"",@progbits
; Kernel info:
; codeLenInByte = 724
; NumSgprs: 18
; NumVgprs: 32
; NumAgprs: 0
; TotalNumVgprs: 32
; ScratchSize: 0
; MemoryBound: 0
; FloatMode: 240
; IeeeMode: 1
; LDSByteSize: 2048 bytes/workgroup (compile time only)
; SGPRBlocks: 2
; VGPRBlocks: 3
; NumSGPRsForWavesPerEU: 18
; NumVGPRsForWavesPerEU: 32
; AccumOffset: 32
; Occupancy: 8
; WaveLimiterHint : 1
; COMPUTE_PGM_RSRC2:SCRATCH_EN: 0
; COMPUTE_PGM_RSRC2:USER_SGPR: 6
; COMPUTE_PGM_RSRC2:TRAP_HANDLER: 0
; COMPUTE_PGM_RSRC2:TGID_X_EN: 1
; COMPUTE_PGM_RSRC2:TGID_Y_EN: 0
; COMPUTE_PGM_RSRC2:TGID_Z_EN: 0
; COMPUTE_PGM_RSRC2:TIDIG_COMP_CNT: 0
; COMPUTE_PGM_RSRC3_GFX90A:ACCUM_OFFSET: 7
; COMPUTE_PGM_RSRC3_GFX90A:TG_SPLIT: 0
	.section	.text._Z6kernelI26subtract_left_partial_tileLj256ELj16ELb0EJPfPiS1_jEEvDpT3_,"axG",@progbits,_Z6kernelI26subtract_left_partial_tileLj256ELj16ELb0EJPfPiS1_jEEvDpT3_,comdat
	.protected	_Z6kernelI26subtract_left_partial_tileLj256ELj16ELb0EJPfPiS1_jEEvDpT3_ ; -- Begin function _Z6kernelI26subtract_left_partial_tileLj256ELj16ELb0EJPfPiS1_jEEvDpT3_
	.globl	_Z6kernelI26subtract_left_partial_tileLj256ELj16ELb0EJPfPiS1_jEEvDpT3_
	.p2align	8
	.type	_Z6kernelI26subtract_left_partial_tileLj256ELj16ELb0EJPfPiS1_jEEvDpT3_,@function
_Z6kernelI26subtract_left_partial_tileLj256ELj16ELb0EJPfPiS1_jEEvDpT3_: ; @_Z6kernelI26subtract_left_partial_tileLj256ELj16ELb0EJPfPiS1_jEEvDpT3_
; %bb.0:
	s_load_dwordx4 s[0:3], s[4:5], 0x0
	s_load_dwordx2 s[8:9], s[4:5], 0x10
	s_lshl_b32 s12, s6, 12
	s_mov_b32 s13, 0
	s_lshl_b64 s[10:11], s[12:13], 2
	s_waitcnt lgkmcnt(0)
	s_add_u32 s0, s0, s10
	s_addc_u32 s1, s1, s11
	v_lshlrev_b32_e32 v31, 2, v0
	v_mov_b32_e32 v1, s1
	v_add_co_u32_e32 v12, vcc, s0, v31
	v_addc_co_u32_e32 v1, vcc, 0, v1, vcc
	global_load_dword v4, v31, s[0:1]
	global_load_dword v5, v31, s[0:1] offset:1024
	global_load_dword v2, v31, s[0:1] offset:2048
	;; [unrolled: 1-line block ×3, first 2 shown]
	s_movk_i32 s0, 0x1000
	v_add_co_u32_e32 v18, vcc, s0, v12
	v_addc_co_u32_e32 v19, vcc, 0, v1, vcc
	s_movk_i32 s0, 0x2000
	v_add_co_u32_e32 v10, vcc, s0, v12
	v_addc_co_u32_e32 v11, vcc, 0, v1, vcc
	s_movk_i32 s0, 0x3000
	v_add_co_u32_e32 v20, vcc, s0, v12
	global_load_dword v14, v[10:11], off offset:-4096
	global_load_dword v8, v[10:11], off
	global_load_dword v9, v[10:11], off offset:1024
	global_load_dword v6, v[10:11], off offset:2048
	global_load_dword v7, v[10:11], off offset:3072
	v_addc_co_u32_e32 v21, vcc, 0, v1, vcc
	global_load_dword v15, v[18:19], off offset:1024
	global_load_dword v16, v[18:19], off offset:2048
	global_load_dword v17, v[18:19], off offset:3072
	global_load_dword v12, v[20:21], off
	global_load_dword v13, v[20:21], off offset:1024
	global_load_dword v11, v[20:21], off offset:2048
	;; [unrolled: 1-line block ×3, first 2 shown]
	s_load_dword s12, s[4:5], 0x18
	s_mov_b32 s7, s13
	s_lshl_b64 s[0:1], s[6:7], 2
	s_add_u32 s0, s2, s0
	s_addc_u32 s1, s3, s1
	s_waitcnt lgkmcnt(0)
	v_cvt_f32_u32_e32 v1, s12
	s_load_dword s4, s[0:1], 0x0
	s_sub_i32 s0, 0, s12
	v_lshlrev_b32_e32 v34, 4, v0
	v_rcp_iflag_f32_e32 v1, v1
	v_or_b32_e32 v18, 15, v34
	v_or_b32_e32 v19, 13, v34
	;; [unrolled: 1-line block ×3, first 2 shown]
	v_mul_f32_e32 v1, 0x4f7ffffe, v1
	v_cvt_u32_f32_e32 v1, v1
	v_or_b32_e32 v21, 11, v34
	v_or_b32_e32 v22, 10, v34
	;; [unrolled: 1-line block ×3, first 2 shown]
	v_readfirstlane_b32 s1, v1
	s_mul_i32 s0, s0, s1
	s_mul_hi_u32 s0, s1, s0
	s_add_i32 s1, s1, s0
	s_lshr_b32 s0, s1, 20
	s_mul_i32 s1, s0, s12
	s_sub_i32 s1, 0x1000, s1
	s_add_i32 s2, s0, 1
	s_sub_i32 s3, s1, s12
	s_cmp_ge_u32 s1, s12
	s_cselect_b32 s0, s2, s0
	s_cselect_b32 s1, s3, s1
	s_add_i32 s2, s0, 1
	s_cmp_ge_u32 s1, s12
	s_cselect_b32 s5, s2, s0
	s_add_i32 s5, s5, 1
	v_or_b32_e32 v1, 14, v34
	v_or_b32_e32 v24, 8, v34
	;; [unrolled: 1-line block ×9, first 2 shown]
	v_cmp_ne_u32_e32 vcc, 0, v0
	v_add_u32_e32 v36, -4, v31
	s_max_u32 s6, s12, 1
	s_branch .LBB130_2
.LBB130_1:                              ;   in Loop: Header=BB130_2 Depth=1
	s_or_b64 exec, exec, s[0:1]
	v_mov_b32_e32 v38, v11
	v_mov_b32_e32 v39, v13
	v_pk_add_f32 v[38:39], v[10:11], v[38:39] neg_lo:[0,1] neg_hi:[0,1]
	v_cmp_gt_u32_e64 s[0:1], s4, v1
	v_cndmask_b32_e64 v39, v11, v39, s[0:1]
	v_cmp_gt_u32_e64 s[0:1], s4, v18
	v_mov_b32_e32 v40, v7
	v_mov_b32_e32 v41, v12
	v_cndmask_b32_e64 v38, v10, v38, s[0:1]
	v_pk_add_f32 v[40:41], v[12:13], v[40:41] neg_lo:[0,1] neg_hi:[0,1]
	v_cmp_gt_u32_e64 s[0:1], s4, v19
	v_cndmask_b32_e64 v41, v13, v41, s[0:1]
	v_cmp_gt_u32_e64 s[0:1], s4, v20
	v_mov_b32_e32 v42, v9
	v_mov_b32_e32 v43, v6
	v_cndmask_b32_e64 v40, v12, v40, s[0:1]
	;; [unrolled: 7-line block ×5, first 2 shown]
	v_pk_add_f32 v[48:49], v[14:15], v[48:49] neg_lo:[0,1] neg_hi:[0,1]
	v_cmp_gt_u32_e64 s[0:1], s4, v28
	v_mov_b32_e32 v50, v5
	v_mov_b32_e32 v51, v2
	v_cndmask_b32_e64 v48, v14, v48, s[0:1]
	v_pk_add_f32 v[50:51], v[2:3], v[50:51] neg_lo:[0,1] neg_hi:[0,1]
	v_cmp_gt_u32_e64 s[0:1], s4, v30
	v_cmp_gt_u32_e64 s[2:3], s4, v27
	v_cndmask_b32_e64 v50, v2, v50, s[0:1]
	v_sub_f32_e32 v33, v5, v4
	v_cmp_gt_u32_e64 s[0:1], s4, v35
	v_cndmask_b32_e64 v49, v15, v49, s[2:3]
	v_cmp_gt_u32_e64 s[2:3], s4, v29
	v_cndmask_b32_e64 v33, v5, v33, s[0:1]
	s_add_i32 s0, s5, s4
	v_cndmask_b32_e64 v51, v3, v51, s[2:3]
	s_and_b32 s4, s0, 0xfff
	s_add_i32 s6, s6, -1
	v_pk_add_f32 v[4:5], v[4:5], v[32:33]
	v_pk_add_f32 v[2:3], v[2:3], v[50:51]
	v_pk_add_f32 v[14:15], v[14:15], v[48:49]
	v_pk_add_f32 v[16:17], v[16:17], v[46:47]
	v_pk_add_f32 v[8:9], v[8:9], v[44:45]
	v_pk_add_f32 v[6:7], v[6:7], v[42:43]
	v_pk_add_f32 v[12:13], v[12:13], v[40:41]
	v_pk_add_f32 v[10:11], v[10:11], v[38:39]
	s_cmp_lg_u32 s6, 0
	s_barrier
	s_cbranch_scc0 .LBB130_4
.LBB130_2:                              ; =>This Inner Loop Header: Depth=1
	s_waitcnt lgkmcnt(0)
	v_cmp_gt_u32_e64 s[0:1], s4, v34
	s_and_b64 s[2:3], vcc, s[0:1]
	s_waitcnt vmcnt(14)
	v_pk_mov_b32 v[32:33], v[4:5], v[4:5] op_sel:[0,1]
	s_waitcnt vmcnt(0)
	ds_write_b32 v31, v10
	s_waitcnt lgkmcnt(0)
	s_barrier
	s_and_saveexec_b64 s[0:1], s[2:3]
	s_cbranch_execz .LBB130_1
; %bb.3:                                ;   in Loop: Header=BB130_2 Depth=1
	ds_read_b32 v32, v36
	s_waitcnt lgkmcnt(0)
	v_sub_f32_e32 v32, v4, v32
	s_branch .LBB130_1
.LBB130_4:
	s_add_u32 s0, s8, s10
	s_addc_u32 s1, s9, s11
	v_lshlrev_b32_e32 v0, 2, v0
	v_mov_b32_e32 v1, s1
	v_add_co_u32_e32 v18, vcc, s0, v0
	v_addc_co_u32_e32 v19, vcc, 0, v1, vcc
	global_store_dword v0, v4, s[0:1]
	global_store_dword v0, v5, s[0:1] offset:1024
	global_store_dword v0, v2, s[0:1] offset:2048
	;; [unrolled: 1-line block ×3, first 2 shown]
	v_add_co_u32_e32 v0, vcc, 0x1000, v18
	v_addc_co_u32_e32 v1, vcc, 0, v19, vcc
	global_store_dword v[0:1], v14, off
	global_store_dword v[0:1], v15, off offset:1024
	global_store_dword v[0:1], v16, off offset:2048
	global_store_dword v[0:1], v17, off offset:3072
	v_add_co_u32_e32 v0, vcc, 0x2000, v18
	v_addc_co_u32_e32 v1, vcc, 0, v19, vcc
	global_store_dword v[0:1], v8, off
	global_store_dword v[0:1], v9, off offset:1024
	global_store_dword v[0:1], v6, off offset:2048
	global_store_dword v[0:1], v7, off offset:3072
	v_add_co_u32_e32 v0, vcc, 0x3000, v18
	v_addc_co_u32_e32 v1, vcc, 0, v19, vcc
	global_store_dword v[0:1], v12, off
	global_store_dword v[0:1], v13, off offset:1024
	global_store_dword v[0:1], v11, off offset:2048
	global_store_dword v[0:1], v10, off offset:3072
	s_endpgm
	.section	.rodata,"a",@progbits
	.p2align	6, 0x0
	.amdhsa_kernel _Z6kernelI26subtract_left_partial_tileLj256ELj16ELb0EJPfPiS1_jEEvDpT3_
		.amdhsa_group_segment_fixed_size 2048
		.amdhsa_private_segment_fixed_size 0
		.amdhsa_kernarg_size 28
		.amdhsa_user_sgpr_count 6
		.amdhsa_user_sgpr_private_segment_buffer 1
		.amdhsa_user_sgpr_dispatch_ptr 0
		.amdhsa_user_sgpr_queue_ptr 0
		.amdhsa_user_sgpr_kernarg_segment_ptr 1
		.amdhsa_user_sgpr_dispatch_id 0
		.amdhsa_user_sgpr_flat_scratch_init 0
		.amdhsa_user_sgpr_kernarg_preload_length 0
		.amdhsa_user_sgpr_kernarg_preload_offset 0
		.amdhsa_user_sgpr_private_segment_size 0
		.amdhsa_uses_dynamic_stack 0
		.amdhsa_system_sgpr_private_segment_wavefront_offset 0
		.amdhsa_system_sgpr_workgroup_id_x 1
		.amdhsa_system_sgpr_workgroup_id_y 0
		.amdhsa_system_sgpr_workgroup_id_z 0
		.amdhsa_system_sgpr_workgroup_info 0
		.amdhsa_system_vgpr_workitem_id 0
		.amdhsa_next_free_vgpr 52
		.amdhsa_next_free_sgpr 14
		.amdhsa_accum_offset 52
		.amdhsa_reserve_vcc 1
		.amdhsa_reserve_flat_scratch 0
		.amdhsa_float_round_mode_32 0
		.amdhsa_float_round_mode_16_64 0
		.amdhsa_float_denorm_mode_32 3
		.amdhsa_float_denorm_mode_16_64 3
		.amdhsa_dx10_clamp 1
		.amdhsa_ieee_mode 1
		.amdhsa_fp16_overflow 0
		.amdhsa_tg_split 0
		.amdhsa_exception_fp_ieee_invalid_op 0
		.amdhsa_exception_fp_denorm_src 0
		.amdhsa_exception_fp_ieee_div_zero 0
		.amdhsa_exception_fp_ieee_overflow 0
		.amdhsa_exception_fp_ieee_underflow 0
		.amdhsa_exception_fp_ieee_inexact 0
		.amdhsa_exception_int_div_zero 0
	.end_amdhsa_kernel
	.section	.text._Z6kernelI26subtract_left_partial_tileLj256ELj16ELb0EJPfPiS1_jEEvDpT3_,"axG",@progbits,_Z6kernelI26subtract_left_partial_tileLj256ELj16ELb0EJPfPiS1_jEEvDpT3_,comdat
.Lfunc_end130:
	.size	_Z6kernelI26subtract_left_partial_tileLj256ELj16ELb0EJPfPiS1_jEEvDpT3_, .Lfunc_end130-_Z6kernelI26subtract_left_partial_tileLj256ELj16ELb0EJPfPiS1_jEEvDpT3_
                                        ; -- End function
	.section	.AMDGPU.csdata,"",@progbits
; Kernel info:
; codeLenInByte = 1148
; NumSgprs: 18
; NumVgprs: 52
; NumAgprs: 0
; TotalNumVgprs: 52
; ScratchSize: 0
; MemoryBound: 0
; FloatMode: 240
; IeeeMode: 1
; LDSByteSize: 2048 bytes/workgroup (compile time only)
; SGPRBlocks: 2
; VGPRBlocks: 6
; NumSGPRsForWavesPerEU: 18
; NumVGPRsForWavesPerEU: 52
; AccumOffset: 52
; Occupancy: 8
; WaveLimiterHint : 1
; COMPUTE_PGM_RSRC2:SCRATCH_EN: 0
; COMPUTE_PGM_RSRC2:USER_SGPR: 6
; COMPUTE_PGM_RSRC2:TRAP_HANDLER: 0
; COMPUTE_PGM_RSRC2:TGID_X_EN: 1
; COMPUTE_PGM_RSRC2:TGID_Y_EN: 0
; COMPUTE_PGM_RSRC2:TGID_Z_EN: 0
; COMPUTE_PGM_RSRC2:TIDIG_COMP_CNT: 0
; COMPUTE_PGM_RSRC3_GFX90A:ACCUM_OFFSET: 12
; COMPUTE_PGM_RSRC3_GFX90A:TG_SPLIT: 0
	.section	.text._Z6kernelI26subtract_left_partial_tileLj256ELj32ELb0EJPfPiS1_jEEvDpT3_,"axG",@progbits,_Z6kernelI26subtract_left_partial_tileLj256ELj32ELb0EJPfPiS1_jEEvDpT3_,comdat
	.protected	_Z6kernelI26subtract_left_partial_tileLj256ELj32ELb0EJPfPiS1_jEEvDpT3_ ; -- Begin function _Z6kernelI26subtract_left_partial_tileLj256ELj32ELb0EJPfPiS1_jEEvDpT3_
	.globl	_Z6kernelI26subtract_left_partial_tileLj256ELj32ELb0EJPfPiS1_jEEvDpT3_
	.p2align	8
	.type	_Z6kernelI26subtract_left_partial_tileLj256ELj32ELb0EJPfPiS1_jEEvDpT3_,@function
_Z6kernelI26subtract_left_partial_tileLj256ELj32ELb0EJPfPiS1_jEEvDpT3_: ; @_Z6kernelI26subtract_left_partial_tileLj256ELj32ELb0EJPfPiS1_jEEvDpT3_
; %bb.0:
	s_load_dwordx4 s[0:3], s[4:5], 0x0
	s_load_dwordx2 s[8:9], s[4:5], 0x10
	s_lshl_b32 s12, s6, 13
	s_mov_b32 s13, 0
	s_lshl_b64 s[10:11], s[12:13], 2
	s_waitcnt lgkmcnt(0)
	s_add_u32 s0, s0, s10
	s_addc_u32 s1, s1, s11
	v_lshlrev_b32_e32 v63, 2, v0
	v_mov_b32_e32 v1, s1
	v_add_co_u32_e32 v19, vcc, s0, v63
	v_addc_co_u32_e32 v1, vcc, 0, v1, vcc
	global_load_dword v4, v63, s[0:1]
	global_load_dword v5, v63, s[0:1] offset:1024
	global_load_dword v2, v63, s[0:1] offset:2048
	;; [unrolled: 1-line block ×3, first 2 shown]
	s_movk_i32 s0, 0x1000
	v_add_co_u32_e32 v22, vcc, s0, v19
	v_addc_co_u32_e32 v23, vcc, 0, v1, vcc
	s_movk_i32 s0, 0x2000
	v_add_co_u32_e32 v14, vcc, s0, v19
	v_addc_co_u32_e32 v15, vcc, 0, v1, vcc
	;; [unrolled: 3-line block ×5, first 2 shown]
	s_movk_i32 s0, 0x6000
	v_add_co_u32_e32 v38, vcc, s0, v19
	global_load_dword v26, v[14:15], off offset:-4096
	global_load_dword v12, v[14:15], off
	global_load_dword v13, v[14:15], off offset:1024
	global_load_dword v10, v[14:15], off offset:2048
	;; [unrolled: 1-line block ×3, first 2 shown]
	global_load_dword v8, v[34:35], off offset:-4096
	global_load_dword v6, v[34:35], off
	global_load_dword v7, v[34:35], off offset:1024
	v_addc_co_u32_e32 v39, vcc, 0, v1, vcc
	global_load_dword v27, v[22:23], off offset:1024
	global_load_dword v32, v[22:23], off offset:2048
	;; [unrolled: 1-line block ×10, first 2 shown]
	global_load_dword v20, v[38:39], off offset:-4096
	global_load_dword v16, v[38:39], off
	global_load_dword v17, v[38:39], off offset:1024
	global_load_dword v14, v[38:39], off offset:2048
	;; [unrolled: 1-line block ×3, first 2 shown]
	s_movk_i32 s0, 0x7000
	v_add_co_u32_e32 v34, vcc, s0, v19
	v_addc_co_u32_e32 v35, vcc, 0, v1, vcc
	global_load_dword v19, v[36:37], off offset:3072
	global_load_dword v24, v[34:35], off
	global_load_dword v25, v[34:35], off offset:1024
	global_load_dword v23, v[34:35], off offset:2048
	global_load_dword v22, v[34:35], off offset:3072
	s_load_dword s12, s[4:5], 0x18
	s_mov_b32 s7, s13
	s_lshl_b64 s[0:1], s[6:7], 2
	s_add_u32 s0, s2, s0
	s_addc_u32 s1, s3, s1
	s_waitcnt lgkmcnt(0)
	v_cvt_f32_u32_e32 v1, s12
	s_load_dword s4, s[0:1], 0x0
	s_sub_i32 s0, 0, s12
	v_lshlrev_b32_e32 v66, 5, v0
	v_rcp_iflag_f32_e32 v1, v1
	v_or_b32_e32 v34, 31, v66
	v_or_b32_e32 v35, 29, v66
	;; [unrolled: 1-line block ×3, first 2 shown]
	v_mul_f32_e32 v1, 0x4f7ffffe, v1
	v_cvt_u32_f32_e32 v1, v1
	v_or_b32_e32 v37, 27, v66
	v_or_b32_e32 v38, 26, v66
	;; [unrolled: 1-line block ×3, first 2 shown]
	v_readfirstlane_b32 s1, v1
	s_mul_i32 s0, s0, s1
	s_mul_hi_u32 s0, s1, s0
	s_add_i32 s1, s1, s0
	s_lshr_b32 s0, s1, 19
	s_mul_i32 s1, s0, s12
	s_sub_i32 s1, 0x2000, s1
	s_add_i32 s2, s0, 1
	s_sub_i32 s3, s1, s12
	s_cmp_ge_u32 s1, s12
	s_cselect_b32 s0, s2, s0
	s_cselect_b32 s1, s3, s1
	s_add_i32 s2, s0, 1
	s_cmp_ge_u32 s1, s12
	s_cselect_b32 s5, s2, s0
	s_add_i32 s5, s5, 1
	v_or_b32_e32 v1, 30, v66
	v_or_b32_e32 v40, 24, v66
	;; [unrolled: 1-line block ×6, first 2 shown]
	v_cmp_ne_u32_e32 vcc, 0, v0
	v_add_u32_e32 v68, -4, v63
	s_max_u32 s6, s12, 1
	v_or_b32_e32 v44, 20, v66
	v_or_b32_e32 v45, 19, v66
	;; [unrolled: 1-line block ×19, first 2 shown]
	s_branch .LBB131_2
.LBB131_1:                              ;   in Loop: Header=BB131_2 Depth=1
	s_or_b64 exec, exec, s[0:1]
	v_mov_b32_e32 v70, v23
	v_mov_b32_e32 v71, v25
	v_pk_add_f32 v[70:71], v[22:23], v[70:71] neg_lo:[0,1] neg_hi:[0,1]
	v_cmp_gt_u32_e64 s[0:1], s4, v1
	v_cndmask_b32_e64 v71, v23, v71, s[0:1]
	v_cmp_gt_u32_e64 s[0:1], s4, v34
	v_mov_b32_e32 v72, v15
	v_mov_b32_e32 v73, v24
	v_cndmask_b32_e64 v70, v22, v70, s[0:1]
	v_pk_add_f32 v[72:73], v[24:25], v[72:73] neg_lo:[0,1] neg_hi:[0,1]
	v_cmp_gt_u32_e64 s[0:1], s4, v35
	v_cndmask_b32_e64 v73, v25, v73, s[0:1]
	v_cmp_gt_u32_e64 s[0:1], s4, v36
	v_mov_b32_e32 v74, v17
	v_mov_b32_e32 v75, v14
	v_cndmask_b32_e64 v72, v24, v72, s[0:1]
	;; [unrolled: 7-line block ×13, first 2 shown]
	v_pk_add_f32 v[96:97], v[26:27], v[96:97] neg_lo:[0,1] neg_hi:[0,1]
	v_cmp_gt_u32_e64 s[0:1], s4, v60
	v_mov_b32_e32 v98, v5
	v_mov_b32_e32 v99, v2
	v_cndmask_b32_e64 v96, v26, v96, s[0:1]
	v_pk_add_f32 v[98:99], v[2:3], v[98:99] neg_lo:[0,1] neg_hi:[0,1]
	v_cmp_gt_u32_e64 s[0:1], s4, v62
	v_cmp_gt_u32_e64 s[2:3], s4, v59
	v_cndmask_b32_e64 v98, v2, v98, s[0:1]
	v_sub_f32_e32 v65, v5, v4
	v_cmp_gt_u32_e64 s[0:1], s4, v67
	v_cndmask_b32_e64 v97, v27, v97, s[2:3]
	v_cmp_gt_u32_e64 s[2:3], s4, v61
	v_cndmask_b32_e64 v65, v5, v65, s[0:1]
	s_add_i32 s0, s5, s4
	v_cndmask_b32_e64 v99, v3, v99, s[2:3]
	s_and_b32 s4, s0, 0x1fff
	s_add_i32 s6, s6, -1
	v_pk_add_f32 v[4:5], v[4:5], v[64:65]
	v_pk_add_f32 v[2:3], v[2:3], v[98:99]
	;; [unrolled: 1-line block ×16, first 2 shown]
	s_cmp_lg_u32 s6, 0
	s_barrier
	s_cbranch_scc0 .LBB131_4
.LBB131_2:                              ; =>This Inner Loop Header: Depth=1
	s_waitcnt lgkmcnt(0)
	v_cmp_gt_u32_e64 s[0:1], s4, v66
	s_and_b64 s[2:3], vcc, s[0:1]
	s_waitcnt vmcnt(30)
	v_pk_mov_b32 v[64:65], v[4:5], v[4:5] op_sel:[0,1]
	s_waitcnt vmcnt(0)
	ds_write_b32 v63, v22
	s_waitcnt lgkmcnt(0)
	s_barrier
	s_and_saveexec_b64 s[0:1], s[2:3]
	s_cbranch_execz .LBB131_1
; %bb.3:                                ;   in Loop: Header=BB131_2 Depth=1
	ds_read_b32 v64, v68
	s_waitcnt lgkmcnt(0)
	v_sub_f32_e32 v64, v4, v64
	s_branch .LBB131_1
.LBB131_4:
	s_add_u32 s0, s8, s10
	s_addc_u32 s1, s9, s11
	v_lshlrev_b32_e32 v0, 2, v0
	v_mov_b32_e32 v1, s1
	v_add_co_u32_e32 v34, vcc, s0, v0
	v_addc_co_u32_e32 v35, vcc, 0, v1, vcc
	global_store_dword v0, v4, s[0:1]
	global_store_dword v0, v5, s[0:1] offset:1024
	global_store_dword v0, v2, s[0:1] offset:2048
	;; [unrolled: 1-line block ×3, first 2 shown]
	v_add_co_u32_e32 v0, vcc, 0x1000, v34
	v_addc_co_u32_e32 v1, vcc, 0, v35, vcc
	global_store_dword v[0:1], v26, off
	global_store_dword v[0:1], v27, off offset:1024
	global_store_dword v[0:1], v32, off offset:2048
	global_store_dword v[0:1], v33, off offset:3072
	v_add_co_u32_e32 v0, vcc, 0x2000, v34
	v_addc_co_u32_e32 v1, vcc, 0, v35, vcc
	global_store_dword v[0:1], v12, off
	global_store_dword v[0:1], v13, off offset:1024
	global_store_dword v[0:1], v10, off offset:2048
	global_store_dword v[0:1], v11, off offset:3072
	;; [unrolled: 6-line block ×7, first 2 shown]
	s_endpgm
	.section	.rodata,"a",@progbits
	.p2align	6, 0x0
	.amdhsa_kernel _Z6kernelI26subtract_left_partial_tileLj256ELj32ELb0EJPfPiS1_jEEvDpT3_
		.amdhsa_group_segment_fixed_size 2048
		.amdhsa_private_segment_fixed_size 0
		.amdhsa_kernarg_size 28
		.amdhsa_user_sgpr_count 6
		.amdhsa_user_sgpr_private_segment_buffer 1
		.amdhsa_user_sgpr_dispatch_ptr 0
		.amdhsa_user_sgpr_queue_ptr 0
		.amdhsa_user_sgpr_kernarg_segment_ptr 1
		.amdhsa_user_sgpr_dispatch_id 0
		.amdhsa_user_sgpr_flat_scratch_init 0
		.amdhsa_user_sgpr_kernarg_preload_length 0
		.amdhsa_user_sgpr_kernarg_preload_offset 0
		.amdhsa_user_sgpr_private_segment_size 0
		.amdhsa_uses_dynamic_stack 0
		.amdhsa_system_sgpr_private_segment_wavefront_offset 0
		.amdhsa_system_sgpr_workgroup_id_x 1
		.amdhsa_system_sgpr_workgroup_id_y 0
		.amdhsa_system_sgpr_workgroup_id_z 0
		.amdhsa_system_sgpr_workgroup_info 0
		.amdhsa_system_vgpr_workitem_id 0
		.amdhsa_next_free_vgpr 100
		.amdhsa_next_free_sgpr 14
		.amdhsa_accum_offset 100
		.amdhsa_reserve_vcc 1
		.amdhsa_reserve_flat_scratch 0
		.amdhsa_float_round_mode_32 0
		.amdhsa_float_round_mode_16_64 0
		.amdhsa_float_denorm_mode_32 3
		.amdhsa_float_denorm_mode_16_64 3
		.amdhsa_dx10_clamp 1
		.amdhsa_ieee_mode 1
		.amdhsa_fp16_overflow 0
		.amdhsa_tg_split 0
		.amdhsa_exception_fp_ieee_invalid_op 0
		.amdhsa_exception_fp_denorm_src 0
		.amdhsa_exception_fp_ieee_div_zero 0
		.amdhsa_exception_fp_ieee_overflow 0
		.amdhsa_exception_fp_ieee_underflow 0
		.amdhsa_exception_fp_ieee_inexact 0
		.amdhsa_exception_int_div_zero 0
	.end_amdhsa_kernel
	.section	.text._Z6kernelI26subtract_left_partial_tileLj256ELj32ELb0EJPfPiS1_jEEvDpT3_,"axG",@progbits,_Z6kernelI26subtract_left_partial_tileLj256ELj32ELb0EJPfPiS1_jEEvDpT3_,comdat
.Lfunc_end131:
	.size	_Z6kernelI26subtract_left_partial_tileLj256ELj32ELb0EJPfPiS1_jEEvDpT3_, .Lfunc_end131-_Z6kernelI26subtract_left_partial_tileLj256ELj32ELb0EJPfPiS1_jEEvDpT3_
                                        ; -- End function
	.section	.AMDGPU.csdata,"",@progbits
; Kernel info:
; codeLenInByte = 2012
; NumSgprs: 18
; NumVgprs: 100
; NumAgprs: 0
; TotalNumVgprs: 100
; ScratchSize: 0
; MemoryBound: 0
; FloatMode: 240
; IeeeMode: 1
; LDSByteSize: 2048 bytes/workgroup (compile time only)
; SGPRBlocks: 2
; VGPRBlocks: 12
; NumSGPRsForWavesPerEU: 18
; NumVGPRsForWavesPerEU: 100
; AccumOffset: 100
; Occupancy: 4
; WaveLimiterHint : 1
; COMPUTE_PGM_RSRC2:SCRATCH_EN: 0
; COMPUTE_PGM_RSRC2:USER_SGPR: 6
; COMPUTE_PGM_RSRC2:TRAP_HANDLER: 0
; COMPUTE_PGM_RSRC2:TGID_X_EN: 1
; COMPUTE_PGM_RSRC2:TGID_Y_EN: 0
; COMPUTE_PGM_RSRC2:TGID_Z_EN: 0
; COMPUTE_PGM_RSRC2:TIDIG_COMP_CNT: 0
; COMPUTE_PGM_RSRC3_GFX90A:ACCUM_OFFSET: 24
; COMPUTE_PGM_RSRC3_GFX90A:TG_SPLIT: 0
	.section	.text._Z6kernelI26subtract_left_partial_tileLj256ELj1ELb0EJPaPiS1_jEEvDpT3_,"axG",@progbits,_Z6kernelI26subtract_left_partial_tileLj256ELj1ELb0EJPaPiS1_jEEvDpT3_,comdat
	.protected	_Z6kernelI26subtract_left_partial_tileLj256ELj1ELb0EJPaPiS1_jEEvDpT3_ ; -- Begin function _Z6kernelI26subtract_left_partial_tileLj256ELj1ELb0EJPaPiS1_jEEvDpT3_
	.globl	_Z6kernelI26subtract_left_partial_tileLj256ELj1ELb0EJPaPiS1_jEEvDpT3_
	.p2align	8
	.type	_Z6kernelI26subtract_left_partial_tileLj256ELj1ELb0EJPaPiS1_jEEvDpT3_,@function
_Z6kernelI26subtract_left_partial_tileLj256ELj1ELb0EJPaPiS1_jEEvDpT3_: ; @_Z6kernelI26subtract_left_partial_tileLj256ELj1ELb0EJPaPiS1_jEEvDpT3_
; %bb.0:
	s_load_dwordx4 s[12:15], s[4:5], 0x0
	s_load_dwordx2 s[2:3], s[4:5], 0x10
	s_lshl_b32 s8, s6, 8
	s_load_dword s9, s[4:5], 0x18
	s_mov_b32 s7, 0
	s_waitcnt lgkmcnt(0)
	s_add_u32 s0, s12, s8
	s_addc_u32 s1, s13, 0
	global_load_ubyte v1, v0, s[0:1]
	v_cvt_f32_u32_e32 v2, s9
	s_lshl_b64 s[0:1], s[6:7], 2
	s_add_u32 s0, s14, s0
	s_addc_u32 s1, s15, s1
	v_rcp_iflag_f32_e32 v2, v2
	s_load_dword s4, s[0:1], 0x0
	s_sub_i32 s0, 0, s9
	v_cmp_ne_u32_e32 vcc, 0, v0
	v_mul_f32_e32 v2, 0x4f7ffffe, v2
	v_cvt_u32_f32_e32 v2, v2
	v_readfirstlane_b32 s1, v2
	s_mul_i32 s0, s0, s1
	s_mul_hi_u32 s0, s1, s0
	s_add_i32 s1, s1, s0
	s_lshr_b32 s0, s1, 24
	s_mul_i32 s1, s0, s9
	s_sub_i32 s1, 0x100, s1
	s_add_i32 s5, s0, 1
	s_sub_i32 s6, s1, s9
	s_cmp_ge_u32 s1, s9
	s_cselect_b32 s0, s5, s0
	s_cselect_b32 s1, s6, s1
	s_add_i32 s5, s0, 1
	s_cmp_ge_u32 s1, s9
	s_cselect_b32 s5, s5, s0
	s_add_i32 s5, s5, 1
	v_add_u32_e32 v2, -1, v0
	s_max_u32 s6, s9, 1
	s_branch .LBB132_2
.LBB132_1:                              ;   in Loop: Header=BB132_2 Depth=1
	s_or_b64 exec, exec, s[0:1]
	s_add_i32 s0, s5, s4
	s_and_b32 s4, s0, 0xff
	s_add_i32 s6, s6, -1
	v_add_u16_e32 v1, v3, v1
	s_cmp_lg_u32 s6, 0
	s_barrier
	s_cbranch_scc0 .LBB132_4
.LBB132_2:                              ; =>This Inner Loop Header: Depth=1
	s_waitcnt lgkmcnt(0)
	v_cmp_gt_u32_e64 s[0:1], s4, v0
	s_and_b64 s[10:11], vcc, s[0:1]
	s_waitcnt vmcnt(0)
	v_mov_b32_e32 v3, v1
	ds_write_b8 v0, v1
	s_waitcnt lgkmcnt(0)
	s_barrier
	s_and_saveexec_b64 s[0:1], s[10:11]
	s_cbranch_execz .LBB132_1
; %bb.3:                                ;   in Loop: Header=BB132_2 Depth=1
	ds_read_u8 v3, v2
	s_waitcnt lgkmcnt(0)
	v_sub_u16_e32 v3, v1, v3
	s_branch .LBB132_1
.LBB132_4:
	s_add_u32 s0, s2, s8
	s_addc_u32 s1, s3, 0
	v_mov_b32_e32 v3, s1
	v_add_co_u32_e32 v2, vcc, s0, v0
	v_addc_co_u32_e32 v3, vcc, 0, v3, vcc
	global_store_byte v[2:3], v1, off
	s_endpgm
	.section	.rodata,"a",@progbits
	.p2align	6, 0x0
	.amdhsa_kernel _Z6kernelI26subtract_left_partial_tileLj256ELj1ELb0EJPaPiS1_jEEvDpT3_
		.amdhsa_group_segment_fixed_size 512
		.amdhsa_private_segment_fixed_size 0
		.amdhsa_kernarg_size 28
		.amdhsa_user_sgpr_count 6
		.amdhsa_user_sgpr_private_segment_buffer 1
		.amdhsa_user_sgpr_dispatch_ptr 0
		.amdhsa_user_sgpr_queue_ptr 0
		.amdhsa_user_sgpr_kernarg_segment_ptr 1
		.amdhsa_user_sgpr_dispatch_id 0
		.amdhsa_user_sgpr_flat_scratch_init 0
		.amdhsa_user_sgpr_kernarg_preload_length 0
		.amdhsa_user_sgpr_kernarg_preload_offset 0
		.amdhsa_user_sgpr_private_segment_size 0
		.amdhsa_uses_dynamic_stack 0
		.amdhsa_system_sgpr_private_segment_wavefront_offset 0
		.amdhsa_system_sgpr_workgroup_id_x 1
		.amdhsa_system_sgpr_workgroup_id_y 0
		.amdhsa_system_sgpr_workgroup_id_z 0
		.amdhsa_system_sgpr_workgroup_info 0
		.amdhsa_system_vgpr_workitem_id 0
		.amdhsa_next_free_vgpr 4
		.amdhsa_next_free_sgpr 16
		.amdhsa_accum_offset 4
		.amdhsa_reserve_vcc 1
		.amdhsa_reserve_flat_scratch 0
		.amdhsa_float_round_mode_32 0
		.amdhsa_float_round_mode_16_64 0
		.amdhsa_float_denorm_mode_32 3
		.amdhsa_float_denorm_mode_16_64 3
		.amdhsa_dx10_clamp 1
		.amdhsa_ieee_mode 1
		.amdhsa_fp16_overflow 0
		.amdhsa_tg_split 0
		.amdhsa_exception_fp_ieee_invalid_op 0
		.amdhsa_exception_fp_denorm_src 0
		.amdhsa_exception_fp_ieee_div_zero 0
		.amdhsa_exception_fp_ieee_overflow 0
		.amdhsa_exception_fp_ieee_underflow 0
		.amdhsa_exception_fp_ieee_inexact 0
		.amdhsa_exception_int_div_zero 0
	.end_amdhsa_kernel
	.section	.text._Z6kernelI26subtract_left_partial_tileLj256ELj1ELb0EJPaPiS1_jEEvDpT3_,"axG",@progbits,_Z6kernelI26subtract_left_partial_tileLj256ELj1ELb0EJPaPiS1_jEEvDpT3_,comdat
.Lfunc_end132:
	.size	_Z6kernelI26subtract_left_partial_tileLj256ELj1ELb0EJPaPiS1_jEEvDpT3_, .Lfunc_end132-_Z6kernelI26subtract_left_partial_tileLj256ELj1ELb0EJPaPiS1_jEEvDpT3_
                                        ; -- End function
	.section	.AMDGPU.csdata,"",@progbits
; Kernel info:
; codeLenInByte = 316
; NumSgprs: 20
; NumVgprs: 4
; NumAgprs: 0
; TotalNumVgprs: 4
; ScratchSize: 0
; MemoryBound: 0
; FloatMode: 240
; IeeeMode: 1
; LDSByteSize: 512 bytes/workgroup (compile time only)
; SGPRBlocks: 2
; VGPRBlocks: 0
; NumSGPRsForWavesPerEU: 20
; NumVGPRsForWavesPerEU: 4
; AccumOffset: 4
; Occupancy: 8
; WaveLimiterHint : 0
; COMPUTE_PGM_RSRC2:SCRATCH_EN: 0
; COMPUTE_PGM_RSRC2:USER_SGPR: 6
; COMPUTE_PGM_RSRC2:TRAP_HANDLER: 0
; COMPUTE_PGM_RSRC2:TGID_X_EN: 1
; COMPUTE_PGM_RSRC2:TGID_Y_EN: 0
; COMPUTE_PGM_RSRC2:TGID_Z_EN: 0
; COMPUTE_PGM_RSRC2:TIDIG_COMP_CNT: 0
; COMPUTE_PGM_RSRC3_GFX90A:ACCUM_OFFSET: 0
; COMPUTE_PGM_RSRC3_GFX90A:TG_SPLIT: 0
	.section	.text._Z6kernelI26subtract_left_partial_tileLj256ELj3ELb0EJPaPiS1_jEEvDpT3_,"axG",@progbits,_Z6kernelI26subtract_left_partial_tileLj256ELj3ELb0EJPaPiS1_jEEvDpT3_,comdat
	.protected	_Z6kernelI26subtract_left_partial_tileLj256ELj3ELb0EJPaPiS1_jEEvDpT3_ ; -- Begin function _Z6kernelI26subtract_left_partial_tileLj256ELj3ELb0EJPaPiS1_jEEvDpT3_
	.globl	_Z6kernelI26subtract_left_partial_tileLj256ELj3ELb0EJPaPiS1_jEEvDpT3_
	.p2align	8
	.type	_Z6kernelI26subtract_left_partial_tileLj256ELj3ELb0EJPaPiS1_jEEvDpT3_,@function
_Z6kernelI26subtract_left_partial_tileLj256ELj3ELb0EJPaPiS1_jEEvDpT3_: ; @_Z6kernelI26subtract_left_partial_tileLj256ELj3ELb0EJPaPiS1_jEEvDpT3_
; %bb.0:
	s_load_dwordx4 s[0:3], s[4:5], 0x0
	s_load_dwordx2 s[8:9], s[4:5], 0x10
	s_mul_i32 s10, s6, 0x300
	s_load_dword s11, s[4:5], 0x18
	s_mov_b32 s7, 0
	s_waitcnt lgkmcnt(0)
	s_add_u32 s0, s0, s10
	s_addc_u32 s1, s1, 0
	global_load_ubyte v5, v0, s[0:1] offset:256
	global_load_ubyte v6, v0, s[0:1]
	global_load_ubyte v7, v0, s[0:1] offset:512
	v_cvt_f32_u32_e32 v4, s11
	s_lshl_b64 s[0:1], s[6:7], 2
	s_add_u32 s0, s2, s0
	s_addc_u32 s1, s3, s1
	v_rcp_iflag_f32_e32 v8, v4
	s_sub_i32 s3, 0, s11
	s_load_dword s2, s[0:1], 0x0
	s_mov_b32 s4, 0x3020104
	v_mul_f32_e32 v8, 0x4f7ffffe, v8
	v_cvt_u32_f32_e32 v8, v8
	s_mov_b32 s5, 0xff0000
	v_mul_u32_u24_e32 v1, 3, v0
	v_mad_u32_u24 v2, v0, 3, 2
	v_readfirstlane_b32 s0, v8
	s_mul_i32 s3, s3, s0
	s_mul_hi_u32 s1, s0, s3
	s_add_i32 s0, s0, s1
	s_mul_hi_u32 s0, s0, 0x300
	s_mul_i32 s1, s0, s11
	s_sub_i32 s1, 0x300, s1
	s_add_i32 s3, s0, 1
	s_sub_i32 s6, s1, s11
	s_cmp_ge_u32 s1, s11
	s_cselect_b32 s0, s3, s0
	s_cselect_b32 s1, s6, s1
	s_add_i32 s3, s0, 1
	s_cmp_ge_u32 s1, s11
	s_cselect_b32 s6, s3, s0
	v_mad_u32_u24 v3, v0, 3, 1
	v_cmp_ne_u32_e32 vcc, 0, v0
	v_add_u32_e32 v4, -1, v0
	s_max_u32 s3, s11, 1
	s_add_i32 s6, s6, 1
	s_waitcnt vmcnt(2)
	v_lshlrev_b16_e32 v5, 8, v5
	s_waitcnt vmcnt(1)
	v_or_b32_e32 v5, v6, v5
	v_and_b32_e32 v5, 0xffff, v5
	s_waitcnt vmcnt(0)
	v_lshl_or_b32 v6, v7, 16, v5
	v_mov_b32_e32 v5, 8
                                        ; implicit-def: $vgpr7
	s_branch .LBB133_2
.LBB133_1:                              ;   in Loop: Header=BB133_2 Depth=1
	s_or_b64 exec, exec, s[0:1]
	s_add_i32 s0, s6, s2
	s_mul_hi_u32 s1, s0, 0xaaaaaaab
	v_add_u16_e32 v9, v12, v9
	v_add_u16_e32 v8, v11, v8
	s_lshr_b32 s1, s1, 9
	v_add_u16_e32 v10, v7, v6
	v_lshlrev_b16_e32 v6, 8, v9
	v_and_b32_e32 v11, 0xff, v8
	s_mulk_i32 s1, 0x300
	v_or_b32_sdwa v6, v10, v6 dst_sel:DWORD dst_unused:UNUSED_PAD src0_sel:BYTE_0 src1_sel:DWORD
	v_lshlrev_b32_e32 v11, 16, v11
	s_sub_i32 s2, s0, s1
	s_add_i32 s3, s3, -1
	v_or_b32_sdwa v6, v6, v11 dst_sel:DWORD dst_unused:UNUSED_PAD src0_sel:WORD_0 src1_sel:DWORD
	s_cmp_lg_u32 s3, 0
	s_barrier
	s_cbranch_scc0 .LBB133_4
.LBB133_2:                              ; =>This Inner Loop Header: Depth=1
	v_and_b32_e32 v8, 0xffffff00, v6
	v_or_b32_sdwa v10, v7, v8 dst_sel:DWORD dst_unused:UNUSED_PAD src0_sel:BYTE_0 src1_sel:DWORD
	v_lshrrev_b32_e32 v8, 16, v6
	v_lshrrev_b32_e32 v9, 8, v6
	v_and_b32_e32 v11, 0xffffff00, v8
	v_sub_u16_e32 v12, v8, v9
	v_or_b32_sdwa v11, v12, v11 dst_sel:WORD_1 dst_unused:UNUSED_PAD src0_sel:BYTE_0 src1_sel:DWORD
	v_and_b32_e32 v12, 0xffff0000, v6
	s_waitcnt lgkmcnt(0)
	v_cmp_gt_u32_e64 s[0:1], s2, v2
	v_cndmask_b32_e64 v11, v12, v11, s[0:1]
	v_sub_u16_sdwa v12, v9, v6 dst_sel:BYTE_1 dst_unused:UNUSED_PAD src0_sel:DWORD src1_sel:DWORD
	v_or_b32_sdwa v7, v7, v12 dst_sel:DWORD dst_unused:UNUSED_PAD src0_sel:BYTE_0 src1_sel:DWORD
	v_and_b32_e32 v10, 0xffff, v10
	v_and_b32_e32 v7, 0xffff, v7
	v_cmp_gt_u32_e64 s[0:1], s2, v3
	v_cndmask_b32_e64 v7, v10, v7, s[0:1]
	v_or_b32_e32 v10, v7, v11
	v_cmp_gt_u32_e64 s[0:1], s2, v1
	v_lshrrev_b32_e32 v11, 16, v11
	v_lshrrev_b32_e32 v12, 8, v10
	s_and_b64 s[12:13], vcc, s[0:1]
	v_mov_b32_e32 v7, v6
	ds_write_b8 v0, v8
	s_waitcnt lgkmcnt(0)
	s_barrier
	s_and_saveexec_b64 s[0:1], s[12:13]
	s_cbranch_execz .LBB133_1
; %bb.3:                                ;   in Loop: Header=BB133_2 Depth=1
	v_perm_b32 v7, v6, v10, s4
	ds_read_u8 v12, v4
	v_lshrrev_b32_sdwa v10, v5, v7 dst_sel:BYTE_1 dst_unused:UNUSED_PAD src0_sel:DWORD src1_sel:DWORD
	v_or_b32_sdwa v10, v6, v10 dst_sel:DWORD dst_unused:UNUSED_PAD src0_sel:BYTE_0 src1_sel:DWORD
	v_and_b32_e32 v10, 0xffff, v10
	v_and_or_b32 v10, v7, s5, v10
	v_lshrrev_b32_e32 v11, 16, v10
	s_waitcnt lgkmcnt(0)
	v_sub_u16_e32 v7, v6, v12
	v_lshrrev_b32_e32 v12, 8, v10
	s_branch .LBB133_1
.LBB133_4:
	s_add_u32 s0, s8, s10
	s_addc_u32 s1, s9, 0
	v_mov_b32_e32 v1, s1
	v_add_co_u32_e32 v0, vcc, s0, v0
	v_addc_co_u32_e32 v1, vcc, 0, v1, vcc
	global_store_byte v[0:1], v10, off
	global_store_byte v[0:1], v9, off offset:256
	global_store_byte v[0:1], v8, off offset:512
	s_endpgm
	.section	.rodata,"a",@progbits
	.p2align	6, 0x0
	.amdhsa_kernel _Z6kernelI26subtract_left_partial_tileLj256ELj3ELb0EJPaPiS1_jEEvDpT3_
		.amdhsa_group_segment_fixed_size 512
		.amdhsa_private_segment_fixed_size 0
		.amdhsa_kernarg_size 28
		.amdhsa_user_sgpr_count 6
		.amdhsa_user_sgpr_private_segment_buffer 1
		.amdhsa_user_sgpr_dispatch_ptr 0
		.amdhsa_user_sgpr_queue_ptr 0
		.amdhsa_user_sgpr_kernarg_segment_ptr 1
		.amdhsa_user_sgpr_dispatch_id 0
		.amdhsa_user_sgpr_flat_scratch_init 0
		.amdhsa_user_sgpr_kernarg_preload_length 0
		.amdhsa_user_sgpr_kernarg_preload_offset 0
		.amdhsa_user_sgpr_private_segment_size 0
		.amdhsa_uses_dynamic_stack 0
		.amdhsa_system_sgpr_private_segment_wavefront_offset 0
		.amdhsa_system_sgpr_workgroup_id_x 1
		.amdhsa_system_sgpr_workgroup_id_y 0
		.amdhsa_system_sgpr_workgroup_id_z 0
		.amdhsa_system_sgpr_workgroup_info 0
		.amdhsa_system_vgpr_workitem_id 0
		.amdhsa_next_free_vgpr 13
		.amdhsa_next_free_sgpr 14
		.amdhsa_accum_offset 16
		.amdhsa_reserve_vcc 1
		.amdhsa_reserve_flat_scratch 0
		.amdhsa_float_round_mode_32 0
		.amdhsa_float_round_mode_16_64 0
		.amdhsa_float_denorm_mode_32 3
		.amdhsa_float_denorm_mode_16_64 3
		.amdhsa_dx10_clamp 1
		.amdhsa_ieee_mode 1
		.amdhsa_fp16_overflow 0
		.amdhsa_tg_split 0
		.amdhsa_exception_fp_ieee_invalid_op 0
		.amdhsa_exception_fp_denorm_src 0
		.amdhsa_exception_fp_ieee_div_zero 0
		.amdhsa_exception_fp_ieee_overflow 0
		.amdhsa_exception_fp_ieee_underflow 0
		.amdhsa_exception_fp_ieee_inexact 0
		.amdhsa_exception_int_div_zero 0
	.end_amdhsa_kernel
	.section	.text._Z6kernelI26subtract_left_partial_tileLj256ELj3ELb0EJPaPiS1_jEEvDpT3_,"axG",@progbits,_Z6kernelI26subtract_left_partial_tileLj256ELj3ELb0EJPaPiS1_jEEvDpT3_,comdat
.Lfunc_end133:
	.size	_Z6kernelI26subtract_left_partial_tileLj256ELj3ELb0EJPaPiS1_jEEvDpT3_, .Lfunc_end133-_Z6kernelI26subtract_left_partial_tileLj256ELj3ELb0EJPaPiS1_jEEvDpT3_
                                        ; -- End function
	.section	.AMDGPU.csdata,"",@progbits
; Kernel info:
; codeLenInByte = 656
; NumSgprs: 18
; NumVgprs: 13
; NumAgprs: 0
; TotalNumVgprs: 13
; ScratchSize: 0
; MemoryBound: 0
; FloatMode: 240
; IeeeMode: 1
; LDSByteSize: 512 bytes/workgroup (compile time only)
; SGPRBlocks: 2
; VGPRBlocks: 1
; NumSGPRsForWavesPerEU: 18
; NumVGPRsForWavesPerEU: 13
; AccumOffset: 16
; Occupancy: 8
; WaveLimiterHint : 1
; COMPUTE_PGM_RSRC2:SCRATCH_EN: 0
; COMPUTE_PGM_RSRC2:USER_SGPR: 6
; COMPUTE_PGM_RSRC2:TRAP_HANDLER: 0
; COMPUTE_PGM_RSRC2:TGID_X_EN: 1
; COMPUTE_PGM_RSRC2:TGID_Y_EN: 0
; COMPUTE_PGM_RSRC2:TGID_Z_EN: 0
; COMPUTE_PGM_RSRC2:TIDIG_COMP_CNT: 0
; COMPUTE_PGM_RSRC3_GFX90A:ACCUM_OFFSET: 3
; COMPUTE_PGM_RSRC3_GFX90A:TG_SPLIT: 0
	.section	.text._Z6kernelI26subtract_left_partial_tileLj256ELj4ELb0EJPaPiS1_jEEvDpT3_,"axG",@progbits,_Z6kernelI26subtract_left_partial_tileLj256ELj4ELb0EJPaPiS1_jEEvDpT3_,comdat
	.protected	_Z6kernelI26subtract_left_partial_tileLj256ELj4ELb0EJPaPiS1_jEEvDpT3_ ; -- Begin function _Z6kernelI26subtract_left_partial_tileLj256ELj4ELb0EJPaPiS1_jEEvDpT3_
	.globl	_Z6kernelI26subtract_left_partial_tileLj256ELj4ELb0EJPaPiS1_jEEvDpT3_
	.p2align	8
	.type	_Z6kernelI26subtract_left_partial_tileLj256ELj4ELb0EJPaPiS1_jEEvDpT3_,@function
_Z6kernelI26subtract_left_partial_tileLj256ELj4ELb0EJPaPiS1_jEEvDpT3_: ; @_Z6kernelI26subtract_left_partial_tileLj256ELj4ELb0EJPaPiS1_jEEvDpT3_
; %bb.0:
	s_load_dwordx4 s[0:3], s[4:5], 0x0
	s_load_dwordx2 s[8:9], s[4:5], 0x10
	s_lshl_b32 s10, s6, 10
	s_load_dword s4, s[4:5], 0x18
	s_mov_b32 s7, 0
	s_waitcnt lgkmcnt(0)
	s_add_u32 s0, s0, s10
	s_addc_u32 s1, s1, 0
	global_load_ubyte v6, v0, s[0:1] offset:256
	global_load_ubyte v7, v0, s[0:1] offset:768
	global_load_ubyte v8, v0, s[0:1]
	global_load_ubyte v9, v0, s[0:1] offset:512
	v_cvt_f32_u32_e32 v5, s4
	s_lshl_b64 s[0:1], s[6:7], 2
	s_add_u32 s0, s2, s0
	s_addc_u32 s1, s3, s1
	v_rcp_iflag_f32_e32 v10, v5
	s_sub_i32 s3, 0, s4
	s_load_dword s2, s[0:1], 0x0
	v_lshlrev_b32_e32 v1, 2, v0
	v_mul_f32_e32 v10, 0x4f7ffffe, v10
	v_cvt_u32_f32_e32 v10, v10
	v_cmp_ne_u32_e32 vcc, 0, v0
	v_add_u32_e32 v2, -1, v0
	v_or_b32_e32 v3, 3, v1
	v_readfirstlane_b32 s0, v10
	s_mul_i32 s3, s3, s0
	s_mul_hi_u32 s1, s0, s3
	s_add_i32 s0, s0, s1
	s_lshr_b32 s0, s0, 22
	s_mul_i32 s1, s0, s4
	s_sub_i32 s1, 0x400, s1
	s_add_i32 s3, s0, 1
	s_sub_i32 s5, s1, s4
	s_cmp_ge_u32 s1, s4
	s_cselect_b32 s0, s3, s0
	s_cselect_b32 s1, s5, s1
	s_add_i32 s3, s0, 1
	s_cmp_ge_u32 s1, s4
	s_cselect_b32 s0, s3, s0
	v_or_b32_e32 v4, 2, v1
	v_or_b32_e32 v5, 1, v1
	s_max_u32 s3, s4, 1
	s_add_i32 s4, s0, 1
	s_mov_b32 s5, 0x3020104
	s_waitcnt vmcnt(3)
	v_lshlrev_b16_e32 v6, 8, v6
	s_waitcnt vmcnt(2)
	v_lshlrev_b16_e32 v7, 8, v7
	s_waitcnt vmcnt(1)
	v_or_b32_e32 v6, v8, v6
	s_waitcnt vmcnt(0)
	v_or_b32_sdwa v7, v9, v7 dst_sel:WORD_1 dst_unused:UNUSED_PAD src0_sel:DWORD src1_sel:DWORD
	v_or_b32_sdwa v6, v6, v7 dst_sel:DWORD dst_unused:UNUSED_PAD src0_sel:WORD_0 src1_sel:DWORD
                                        ; implicit-def: $vgpr7
	s_branch .LBB134_2
.LBB134_1:                              ;   in Loop: Header=BB134_2 Depth=1
	s_or_b64 exec, exec, s[0:1]
	v_add_u16_e32 v10, v14, v10
	v_add_u16_e32 v9, v13, v9
	;; [unrolled: 1-line block ×4, first 2 shown]
	v_lshlrev_b16_e32 v6, 8, v10
	v_lshlrev_b16_e32 v11, 8, v9
	s_add_i32 s0, s4, s2
	v_or_b32_sdwa v6, v12, v6 dst_sel:DWORD dst_unused:UNUSED_PAD src0_sel:BYTE_0 src1_sel:DWORD
	v_or_b32_sdwa v11, v8, v11 dst_sel:WORD_1 dst_unused:UNUSED_PAD src0_sel:BYTE_0 src1_sel:DWORD
	s_and_b32 s2, s0, 0x3ff
	s_add_i32 s3, s3, -1
	v_or_b32_sdwa v6, v6, v11 dst_sel:DWORD dst_unused:UNUSED_PAD src0_sel:WORD_0 src1_sel:DWORD
	s_cmp_lg_u32 s3, 0
	s_barrier
	s_cbranch_scc0 .LBB134_4
.LBB134_2:                              ; =>This Inner Loop Header: Depth=1
	v_and_b32_e32 v8, 0xffffff00, v6
	v_or_b32_sdwa v12, v7, v8 dst_sel:DWORD dst_unused:UNUSED_PAD src0_sel:BYTE_0 src1_sel:DWORD
	v_lshrrev_b32_e32 v8, 16, v6
	v_lshrrev_b32_e32 v9, 24, v6
	v_sub_u16_sdwa v10, v9, v8 dst_sel:BYTE_1 dst_unused:UNUSED_PAD src0_sel:DWORD src1_sel:DWORD
	s_waitcnt lgkmcnt(0)
	v_cmp_gt_u32_e64 s[0:1], s2, v3
	v_cndmask_b32_e64 v10, v8, v10, s[0:1]
	v_and_b32_e32 v11, 0xffffff00, v10
	v_lshrrev_b32_e32 v10, 8, v6
	v_sub_u16_e32 v13, v8, v10
	v_or_b32_sdwa v13, v13, v11 dst_sel:DWORD dst_unused:UNUSED_PAD src0_sel:BYTE_0 src1_sel:DWORD
	v_or_b32_sdwa v11, v8, v11 dst_sel:DWORD dst_unused:UNUSED_PAD src0_sel:BYTE_0 src1_sel:DWORD
	v_cmp_gt_u32_e64 s[0:1], s2, v4
	v_cndmask_b32_e64 v11, v11, v13, s[0:1]
	v_sub_u16_sdwa v13, v10, v6 dst_sel:BYTE_1 dst_unused:UNUSED_PAD src0_sel:DWORD src1_sel:DWORD
	v_or_b32_sdwa v7, v7, v13 dst_sel:DWORD dst_unused:UNUSED_PAD src0_sel:BYTE_0 src1_sel:DWORD
	v_and_b32_e32 v12, 0xffff, v12
	v_and_b32_e32 v7, 0xffff, v7
	v_cmp_gt_u32_e64 s[0:1], s2, v5
	v_cndmask_b32_e64 v7, v12, v7, s[0:1]
	v_lshl_or_b32 v12, v11, 16, v7
	v_cmp_gt_u32_e64 s[0:1], s2, v1
	v_lshrrev_b32_e32 v14, 8, v12
	v_bfe_u32 v13, v11, 8, 8
	s_and_b64 s[6:7], vcc, s[0:1]
	v_mov_b32_e32 v7, v6
	ds_write_b8 v0, v9
	s_waitcnt lgkmcnt(0)
	s_barrier
	s_and_saveexec_b64 s[0:1], s[6:7]
	s_cbranch_execz .LBB134_1
; %bb.3:                                ;   in Loop: Header=BB134_2 Depth=1
	ds_read_u8 v7, v2
	v_perm_b32 v12, v6, v12, s5
	v_lshrrev_b32_e32 v11, 16, v12
	v_lshrrev_b32_e32 v13, 24, v12
	;; [unrolled: 1-line block ×3, first 2 shown]
	s_waitcnt lgkmcnt(0)
	v_sub_u16_e32 v7, v6, v7
	s_branch .LBB134_1
.LBB134_4:
	s_add_u32 s0, s8, s10
	s_addc_u32 s1, s9, 0
	v_mov_b32_e32 v1, s1
	v_add_co_u32_e32 v0, vcc, s0, v0
	v_addc_co_u32_e32 v1, vcc, 0, v1, vcc
	global_store_byte v[0:1], v12, off
	global_store_byte v[0:1], v10, off offset:256
	global_store_byte v[0:1], v8, off offset:512
	;; [unrolled: 1-line block ×3, first 2 shown]
	s_endpgm
	.section	.rodata,"a",@progbits
	.p2align	6, 0x0
	.amdhsa_kernel _Z6kernelI26subtract_left_partial_tileLj256ELj4ELb0EJPaPiS1_jEEvDpT3_
		.amdhsa_group_segment_fixed_size 512
		.amdhsa_private_segment_fixed_size 0
		.amdhsa_kernarg_size 28
		.amdhsa_user_sgpr_count 6
		.amdhsa_user_sgpr_private_segment_buffer 1
		.amdhsa_user_sgpr_dispatch_ptr 0
		.amdhsa_user_sgpr_queue_ptr 0
		.amdhsa_user_sgpr_kernarg_segment_ptr 1
		.amdhsa_user_sgpr_dispatch_id 0
		.amdhsa_user_sgpr_flat_scratch_init 0
		.amdhsa_user_sgpr_kernarg_preload_length 0
		.amdhsa_user_sgpr_kernarg_preload_offset 0
		.amdhsa_user_sgpr_private_segment_size 0
		.amdhsa_uses_dynamic_stack 0
		.amdhsa_system_sgpr_private_segment_wavefront_offset 0
		.amdhsa_system_sgpr_workgroup_id_x 1
		.amdhsa_system_sgpr_workgroup_id_y 0
		.amdhsa_system_sgpr_workgroup_id_z 0
		.amdhsa_system_sgpr_workgroup_info 0
		.amdhsa_system_vgpr_workitem_id 0
		.amdhsa_next_free_vgpr 15
		.amdhsa_next_free_sgpr 11
		.amdhsa_accum_offset 16
		.amdhsa_reserve_vcc 1
		.amdhsa_reserve_flat_scratch 0
		.amdhsa_float_round_mode_32 0
		.amdhsa_float_round_mode_16_64 0
		.amdhsa_float_denorm_mode_32 3
		.amdhsa_float_denorm_mode_16_64 3
		.amdhsa_dx10_clamp 1
		.amdhsa_ieee_mode 1
		.amdhsa_fp16_overflow 0
		.amdhsa_tg_split 0
		.amdhsa_exception_fp_ieee_invalid_op 0
		.amdhsa_exception_fp_denorm_src 0
		.amdhsa_exception_fp_ieee_div_zero 0
		.amdhsa_exception_fp_ieee_overflow 0
		.amdhsa_exception_fp_ieee_underflow 0
		.amdhsa_exception_fp_ieee_inexact 0
		.amdhsa_exception_int_div_zero 0
	.end_amdhsa_kernel
	.section	.text._Z6kernelI26subtract_left_partial_tileLj256ELj4ELb0EJPaPiS1_jEEvDpT3_,"axG",@progbits,_Z6kernelI26subtract_left_partial_tileLj256ELj4ELb0EJPaPiS1_jEEvDpT3_,comdat
.Lfunc_end134:
	.size	_Z6kernelI26subtract_left_partial_tileLj256ELj4ELb0EJPaPiS1_jEEvDpT3_, .Lfunc_end134-_Z6kernelI26subtract_left_partial_tileLj256ELj4ELb0EJPaPiS1_jEEvDpT3_
                                        ; -- End function
	.section	.AMDGPU.csdata,"",@progbits
; Kernel info:
; codeLenInByte = 656
; NumSgprs: 15
; NumVgprs: 15
; NumAgprs: 0
; TotalNumVgprs: 15
; ScratchSize: 0
; MemoryBound: 0
; FloatMode: 240
; IeeeMode: 1
; LDSByteSize: 512 bytes/workgroup (compile time only)
; SGPRBlocks: 1
; VGPRBlocks: 1
; NumSGPRsForWavesPerEU: 15
; NumVGPRsForWavesPerEU: 15
; AccumOffset: 16
; Occupancy: 8
; WaveLimiterHint : 1
; COMPUTE_PGM_RSRC2:SCRATCH_EN: 0
; COMPUTE_PGM_RSRC2:USER_SGPR: 6
; COMPUTE_PGM_RSRC2:TRAP_HANDLER: 0
; COMPUTE_PGM_RSRC2:TGID_X_EN: 1
; COMPUTE_PGM_RSRC2:TGID_Y_EN: 0
; COMPUTE_PGM_RSRC2:TGID_Z_EN: 0
; COMPUTE_PGM_RSRC2:TIDIG_COMP_CNT: 0
; COMPUTE_PGM_RSRC3_GFX90A:ACCUM_OFFSET: 3
; COMPUTE_PGM_RSRC3_GFX90A:TG_SPLIT: 0
	.section	.text._Z6kernelI26subtract_left_partial_tileLj256ELj8ELb0EJPaPiS1_jEEvDpT3_,"axG",@progbits,_Z6kernelI26subtract_left_partial_tileLj256ELj8ELb0EJPaPiS1_jEEvDpT3_,comdat
	.protected	_Z6kernelI26subtract_left_partial_tileLj256ELj8ELb0EJPaPiS1_jEEvDpT3_ ; -- Begin function _Z6kernelI26subtract_left_partial_tileLj256ELj8ELb0EJPaPiS1_jEEvDpT3_
	.globl	_Z6kernelI26subtract_left_partial_tileLj256ELj8ELb0EJPaPiS1_jEEvDpT3_
	.p2align	8
	.type	_Z6kernelI26subtract_left_partial_tileLj256ELj8ELb0EJPaPiS1_jEEvDpT3_,@function
_Z6kernelI26subtract_left_partial_tileLj256ELj8ELb0EJPaPiS1_jEEvDpT3_: ; @_Z6kernelI26subtract_left_partial_tileLj256ELj8ELb0EJPaPiS1_jEEvDpT3_
; %bb.0:
	s_load_dwordx4 s[0:3], s[4:5], 0x0
	s_load_dwordx2 s[8:9], s[4:5], 0x10
	s_lshl_b32 s10, s6, 11
	s_load_dword s4, s[4:5], 0x18
	s_mov_b32 s7, 0
	s_waitcnt lgkmcnt(0)
	s_add_u32 s0, s0, s10
	s_addc_u32 s1, s1, 0
	global_load_ubyte v10, v0, s[0:1] offset:256
	global_load_ubyte v11, v0, s[0:1] offset:768
	;; [unrolled: 1-line block ×4, first 2 shown]
	global_load_ubyte v14, v0, s[0:1]
	global_load_ubyte v15, v0, s[0:1] offset:512
	global_load_ubyte v16, v0, s[0:1] offset:1024
	;; [unrolled: 1-line block ×3, first 2 shown]
	v_cvt_f32_u32_e32 v9, s4
	s_lshl_b64 s[0:1], s[6:7], 2
	s_add_u32 s0, s2, s0
	s_addc_u32 s1, s3, s1
	v_rcp_iflag_f32_e32 v18, v9
	s_sub_i32 s3, 0, s4
	s_load_dword s2, s[0:1], 0x0
	v_lshlrev_b32_e32 v1, 3, v0
	v_mul_f32_e32 v18, 0x4f7ffffe, v18
	v_cvt_u32_f32_e32 v18, v18
	s_movk_i32 s11, 0xff00
	s_movk_i32 s12, 0xff
	s_mov_b32 s13, 0xffff0000
	v_readfirstlane_b32 s0, v18
	s_mul_i32 s3, s3, s0
	s_mul_hi_u32 s1, s0, s3
	s_add_i32 s0, s0, s1
	s_lshr_b32 s0, s0, 21
	s_mul_i32 s1, s0, s4
	s_sub_i32 s1, 0x800, s1
	s_add_i32 s3, s0, 1
	s_sub_i32 s5, s1, s4
	s_cmp_ge_u32 s1, s4
	s_cselect_b32 s0, s3, s0
	s_cselect_b32 s1, s5, s1
	s_add_i32 s3, s0, 1
	s_cmp_ge_u32 s1, s4
	s_cselect_b32 s0, s3, s0
	v_cmp_ne_u32_e32 vcc, 0, v0
	v_add_u32_e32 v2, -1, v0
	v_or_b32_e32 v3, 7, v1
	v_or_b32_e32 v4, 6, v1
	;; [unrolled: 1-line block ×7, first 2 shown]
	s_max_u32 s3, s4, 1
	s_add_i32 s4, s0, 1
	s_mov_b32 s5, 0x3020104
                                        ; implicit-def: $vgpr22
	s_waitcnt vmcnt(7)
	v_lshlrev_b16_e32 v10, 8, v10
	s_waitcnt vmcnt(6)
	v_lshlrev_b16_e32 v11, 8, v11
	s_waitcnt vmcnt(5)
	v_lshlrev_b16_e32 v12, 8, v12
	s_waitcnt vmcnt(4)
	v_lshlrev_b16_e32 v13, 8, v13
	s_waitcnt vmcnt(3)
	v_or_b32_e32 v10, v14, v10
	s_waitcnt vmcnt(2)
	v_or_b32_sdwa v11, v15, v11 dst_sel:WORD_1 dst_unused:UNUSED_PAD src0_sel:DWORD src1_sel:DWORD
	s_waitcnt vmcnt(1)
	v_or_b32_e32 v12, v16, v12
	s_waitcnt vmcnt(0)
	v_or_b32_sdwa v13, v17, v13 dst_sel:WORD_1 dst_unused:UNUSED_PAD src0_sel:DWORD src1_sel:DWORD
	v_or_b32_sdwa v11, v10, v11 dst_sel:DWORD dst_unused:UNUSED_PAD src0_sel:WORD_0 src1_sel:DWORD
	v_or_b32_sdwa v12, v12, v13 dst_sel:DWORD dst_unused:UNUSED_PAD src0_sel:WORD_0 src1_sel:DWORD
                                        ; implicit-def: $vgpr10
                                        ; implicit-def: $vgpr13
                                        ; implicit-def: $vgpr17
	s_branch .LBB135_2
.LBB135_1:                              ;   in Loop: Header=BB135_2 Depth=1
	s_or_b64 exec, exec, s[0:1]
	v_lshrrev_b32_e32 v20, 8, v10
	v_add_u16_e32 v19, v20, v19
	v_lshrrev_b32_e32 v20, 24, v10
	v_lshrrev_b32_e32 v17, 16, v13
	v_add_u16_sdwa v20, v20, v11 dst_sel:DWORD dst_unused:UNUSED_PAD src0_sel:DWORD src1_sel:BYTE_3
	v_add_u16_e32 v18, v10, v11
	v_add_u16_sdwa v14, v10, v14 dst_sel:DWORD dst_unused:UNUSED_PAD src0_sel:WORD_1 src1_sel:DWORD
	v_add_u16_e32 v21, v13, v12
	v_lshrrev_b32_e32 v22, 8, v13
	v_add_u16_sdwa v23, v17, v12 dst_sel:DWORD dst_unused:UNUSED_PAD src0_sel:DWORD src1_sel:WORD_1
	v_lshlrev_b16_e32 v11, 8, v19
	v_lshlrev_b16_e32 v12, 8, v20
	v_add_u16_e32 v15, v22, v15
	v_add_u16_sdwa v16, v13, v16 dst_sel:DWORD dst_unused:UNUSED_PAD src0_sel:BYTE_3 src1_sel:DWORD
	v_or_b32_sdwa v11, v18, v11 dst_sel:DWORD dst_unused:UNUSED_PAD src0_sel:BYTE_0 src1_sel:DWORD
	v_or_b32_sdwa v12, v14, v12 dst_sel:WORD_1 dst_unused:UNUSED_PAD src0_sel:BYTE_0 src1_sel:DWORD
	s_add_i32 s0, s4, s2
	v_or_b32_sdwa v11, v11, v12 dst_sel:DWORD dst_unused:UNUSED_PAD src0_sel:WORD_0 src1_sel:DWORD
	v_lshlrev_b16_e32 v12, 8, v15
	v_lshlrev_b16_e32 v24, 8, v16
	s_and_b32 s2, s0, 0x7ff
	v_or_b32_sdwa v12, v21, v12 dst_sel:DWORD dst_unused:UNUSED_PAD src0_sel:BYTE_0 src1_sel:DWORD
	v_or_b32_sdwa v24, v23, v24 dst_sel:WORD_1 dst_unused:UNUSED_PAD src0_sel:BYTE_0 src1_sel:DWORD
	s_add_i32 s3, s3, -1
	s_cmp_lg_u32 s3, 0
	v_or_b32_sdwa v12, v12, v24 dst_sel:DWORD dst_unused:UNUSED_PAD src0_sel:WORD_0 src1_sel:DWORD
	s_barrier
	s_cbranch_scc0 .LBB135_4
.LBB135_2:                              ; =>This Inner Loop Header: Depth=1
	v_lshlrev_b16_e32 v16, 8, v22
	v_and_b32_e32 v15, 0xffffff00, v12
	v_or_b32_sdwa v13, v13, v16 dst_sel:DWORD dst_unused:UNUSED_PAD src0_sel:BYTE_0 src1_sel:DWORD
	v_lshrrev_b32_e32 v16, 24, v12
	v_or_b32_sdwa v19, v13, v15 dst_sel:DWORD dst_unused:UNUSED_PAD src0_sel:BYTE_0 src1_sel:DWORD
	v_and_b32_sdwa v15, v12, s11 dst_sel:DWORD dst_unused:UNUSED_PAD src0_sel:WORD_1 src1_sel:DWORD
	v_sub_u16_sdwa v23, v16, v12 dst_sel:BYTE_1 dst_unused:UNUSED_PAD src0_sel:DWORD src1_sel:WORD_1
	v_or_b32_sdwa v20, v17, v15 dst_sel:DWORD dst_unused:UNUSED_PAD src0_sel:BYTE_0 src1_sel:DWORD
	v_or_b32_sdwa v17, v17, v23 dst_sel:DWORD dst_unused:UNUSED_PAD src0_sel:BYTE_0 src1_sel:DWORD
	s_waitcnt lgkmcnt(0)
	v_cmp_gt_u32_e64 s[0:1], s2, v3
	v_lshrrev_b32_e32 v15, 8, v12
	v_cndmask_b32_e64 v17, v20, v17, s[0:1]
	v_and_b32_sdwa v21, v12, s12 dst_sel:DWORD dst_unused:UNUSED_PAD src0_sel:WORD_1 src1_sel:DWORD
	v_and_b32_e32 v17, 0xffffff00, v17
	v_sub_u16_sdwa v20, v12, v15 dst_sel:DWORD dst_unused:UNUSED_PAD src0_sel:WORD_1 src1_sel:DWORD
	v_or_b32_sdwa v20, v20, v17 dst_sel:DWORD dst_unused:UNUSED_PAD src0_sel:BYTE_0 src1_sel:DWORD
	v_or_b32_e32 v17, v21, v17
	v_cmp_gt_u32_e64 s[0:1], s2, v4
	v_cndmask_b32_e64 v17, v17, v20, s[0:1]
	v_sub_u16_sdwa v20, v15, v12 dst_sel:BYTE_1 dst_unused:UNUSED_PAD src0_sel:DWORD src1_sel:DWORD
	v_and_b32_e32 v22, 0xffff, v13
	v_or_b32_sdwa v13, v13, v20 dst_sel:DWORD dst_unused:UNUSED_PAD src0_sel:BYTE_0 src1_sel:DWORD
	v_and_b32_e32 v19, 0xffff, v19
	v_and_b32_e32 v13, 0xffff, v13
	v_cmp_gt_u32_e64 s[0:1], s2, v5
	v_cndmask_b32_e64 v13, v19, v13, s[0:1]
	v_and_b32_e32 v13, 0xffffff00, v13
	v_sub_u16_sdwa v19, v12, v11 dst_sel:DWORD dst_unused:UNUSED_PAD src0_sel:DWORD src1_sel:BYTE_3
	v_or_b32_sdwa v19, v19, v13 dst_sel:DWORD dst_unused:UNUSED_PAD src0_sel:BYTE_0 src1_sel:DWORD
	v_or_b32_sdwa v13, v12, v13 dst_sel:DWORD dst_unused:UNUSED_PAD src0_sel:BYTE_0 src1_sel:DWORD
	v_and_b32_e32 v14, 0xffffff00, v11
	v_and_b32_e32 v13, 0xffff, v13
	;; [unrolled: 1-line block ×3, first 2 shown]
	v_cmp_gt_u32_e64 s[0:1], s2, v6
	v_or_b32_sdwa v18, v10, v14 dst_sel:DWORD dst_unused:UNUSED_PAD src0_sel:BYTE_0 src1_sel:DWORD
	v_lshrrev_b32_e32 v14, 16, v11
	v_lshl_or_b32 v17, v17, 16, v22
	v_cndmask_b32_e64 v13, v13, v19, s[0:1]
	v_and_or_b32 v13, v17, s13, v13
	v_sub_u16_sdwa v17, v11, v14 dst_sel:BYTE_1 dst_unused:UNUSED_PAD src0_sel:BYTE_3 src1_sel:DWORD
	v_cmp_gt_u32_e64 s[0:1], s2, v7
	v_cndmask_b32_e64 v17, v14, v17, s[0:1]
	v_lshrrev_b32_e32 v19, 8, v11
	v_and_b32_e32 v17, 0xffffff00, v17
	v_sub_u16_e32 v20, v14, v19
	v_or_b32_sdwa v20, v20, v17 dst_sel:DWORD dst_unused:UNUSED_PAD src0_sel:BYTE_0 src1_sel:DWORD
	v_or_b32_sdwa v17, v14, v17 dst_sel:DWORD dst_unused:UNUSED_PAD src0_sel:BYTE_0 src1_sel:DWORD
	v_cmp_gt_u32_e64 s[0:1], s2, v8
	v_cndmask_b32_e64 v17, v17, v20, s[0:1]
	v_sub_u16_sdwa v20, v19, v11 dst_sel:BYTE_1 dst_unused:UNUSED_PAD src0_sel:DWORD src1_sel:DWORD
	v_or_b32_sdwa v10, v10, v20 dst_sel:DWORD dst_unused:UNUSED_PAD src0_sel:BYTE_0 src1_sel:DWORD
	v_and_b32_e32 v18, 0xffff, v18
	v_and_b32_e32 v10, 0xffff, v10
	v_cmp_gt_u32_e64 s[0:1], s2, v9
	v_cndmask_b32_e64 v10, v18, v10, s[0:1]
	v_lshl_or_b32 v10, v17, 16, v10
	v_cmp_gt_u32_e64 s[0:1], s2, v1
	v_perm_b32 v10, v11, v10, s5
	s_and_b64 s[6:7], vcc, s[0:1]
	ds_write_b8 v0, v16
	s_waitcnt lgkmcnt(0)
	s_barrier
	s_and_saveexec_b64 s[0:1], s[6:7]
	s_cbranch_execz .LBB135_1
; %bb.3:                                ;   in Loop: Header=BB135_2 Depth=1
	ds_read_u8 v17, v2
	s_waitcnt lgkmcnt(0)
	v_sub_u16_e32 v17, v11, v17
	v_perm_b32 v10, v17, v10, s5
	s_branch .LBB135_1
.LBB135_4:
	s_add_u32 s0, s8, s10
	s_addc_u32 s1, s9, 0
	v_mov_b32_e32 v1, s1
	v_add_co_u32_e32 v0, vcc, s0, v0
	v_addc_co_u32_e32 v1, vcc, 0, v1, vcc
	global_store_byte v[0:1], v18, off
	global_store_byte v[0:1], v19, off offset:256
	global_store_byte v[0:1], v14, off offset:512
	;; [unrolled: 1-line block ×7, first 2 shown]
	s_endpgm
	.section	.rodata,"a",@progbits
	.p2align	6, 0x0
	.amdhsa_kernel _Z6kernelI26subtract_left_partial_tileLj256ELj8ELb0EJPaPiS1_jEEvDpT3_
		.amdhsa_group_segment_fixed_size 512
		.amdhsa_private_segment_fixed_size 0
		.amdhsa_kernarg_size 28
		.amdhsa_user_sgpr_count 6
		.amdhsa_user_sgpr_private_segment_buffer 1
		.amdhsa_user_sgpr_dispatch_ptr 0
		.amdhsa_user_sgpr_queue_ptr 0
		.amdhsa_user_sgpr_kernarg_segment_ptr 1
		.amdhsa_user_sgpr_dispatch_id 0
		.amdhsa_user_sgpr_flat_scratch_init 0
		.amdhsa_user_sgpr_kernarg_preload_length 0
		.amdhsa_user_sgpr_kernarg_preload_offset 0
		.amdhsa_user_sgpr_private_segment_size 0
		.amdhsa_uses_dynamic_stack 0
		.amdhsa_system_sgpr_private_segment_wavefront_offset 0
		.amdhsa_system_sgpr_workgroup_id_x 1
		.amdhsa_system_sgpr_workgroup_id_y 0
		.amdhsa_system_sgpr_workgroup_id_z 0
		.amdhsa_system_sgpr_workgroup_info 0
		.amdhsa_system_vgpr_workitem_id 0
		.amdhsa_next_free_vgpr 25
		.amdhsa_next_free_sgpr 14
		.amdhsa_accum_offset 28
		.amdhsa_reserve_vcc 1
		.amdhsa_reserve_flat_scratch 0
		.amdhsa_float_round_mode_32 0
		.amdhsa_float_round_mode_16_64 0
		.amdhsa_float_denorm_mode_32 3
		.amdhsa_float_denorm_mode_16_64 3
		.amdhsa_dx10_clamp 1
		.amdhsa_ieee_mode 1
		.amdhsa_fp16_overflow 0
		.amdhsa_tg_split 0
		.amdhsa_exception_fp_ieee_invalid_op 0
		.amdhsa_exception_fp_denorm_src 0
		.amdhsa_exception_fp_ieee_div_zero 0
		.amdhsa_exception_fp_ieee_overflow 0
		.amdhsa_exception_fp_ieee_underflow 0
		.amdhsa_exception_fp_ieee_inexact 0
		.amdhsa_exception_int_div_zero 0
	.end_amdhsa_kernel
	.section	.text._Z6kernelI26subtract_left_partial_tileLj256ELj8ELb0EJPaPiS1_jEEvDpT3_,"axG",@progbits,_Z6kernelI26subtract_left_partial_tileLj256ELj8ELb0EJPaPiS1_jEEvDpT3_,comdat
.Lfunc_end135:
	.size	_Z6kernelI26subtract_left_partial_tileLj256ELj8ELb0EJPaPiS1_jEEvDpT3_, .Lfunc_end135-_Z6kernelI26subtract_left_partial_tileLj256ELj8ELb0EJPaPiS1_jEEvDpT3_
                                        ; -- End function
	.section	.AMDGPU.csdata,"",@progbits
; Kernel info:
; codeLenInByte = 1124
; NumSgprs: 18
; NumVgprs: 25
; NumAgprs: 0
; TotalNumVgprs: 25
; ScratchSize: 0
; MemoryBound: 0
; FloatMode: 240
; IeeeMode: 1
; LDSByteSize: 512 bytes/workgroup (compile time only)
; SGPRBlocks: 2
; VGPRBlocks: 3
; NumSGPRsForWavesPerEU: 18
; NumVGPRsForWavesPerEU: 25
; AccumOffset: 28
; Occupancy: 8
; WaveLimiterHint : 1
; COMPUTE_PGM_RSRC2:SCRATCH_EN: 0
; COMPUTE_PGM_RSRC2:USER_SGPR: 6
; COMPUTE_PGM_RSRC2:TRAP_HANDLER: 0
; COMPUTE_PGM_RSRC2:TGID_X_EN: 1
; COMPUTE_PGM_RSRC2:TGID_Y_EN: 0
; COMPUTE_PGM_RSRC2:TGID_Z_EN: 0
; COMPUTE_PGM_RSRC2:TIDIG_COMP_CNT: 0
; COMPUTE_PGM_RSRC3_GFX90A:ACCUM_OFFSET: 6
; COMPUTE_PGM_RSRC3_GFX90A:TG_SPLIT: 0
	.section	.text._Z6kernelI26subtract_left_partial_tileLj256ELj16ELb0EJPaPiS1_jEEvDpT3_,"axG",@progbits,_Z6kernelI26subtract_left_partial_tileLj256ELj16ELb0EJPaPiS1_jEEvDpT3_,comdat
	.protected	_Z6kernelI26subtract_left_partial_tileLj256ELj16ELb0EJPaPiS1_jEEvDpT3_ ; -- Begin function _Z6kernelI26subtract_left_partial_tileLj256ELj16ELb0EJPaPiS1_jEEvDpT3_
	.globl	_Z6kernelI26subtract_left_partial_tileLj256ELj16ELb0EJPaPiS1_jEEvDpT3_
	.p2align	8
	.type	_Z6kernelI26subtract_left_partial_tileLj256ELj16ELb0EJPaPiS1_jEEvDpT3_,@function
_Z6kernelI26subtract_left_partial_tileLj256ELj16ELb0EJPaPiS1_jEEvDpT3_: ; @_Z6kernelI26subtract_left_partial_tileLj256ELj16ELb0EJPaPiS1_jEEvDpT3_
; %bb.0:
	s_load_dwordx4 s[0:3], s[4:5], 0x0
	s_load_dwordx2 s[8:9], s[4:5], 0x10
	s_lshl_b32 s10, s6, 12
	s_load_dword s4, s[4:5], 0x18
	s_mov_b32 s7, 0
	s_waitcnt lgkmcnt(0)
	s_add_u32 s0, s0, s10
	s_addc_u32 s1, s1, 0
	global_load_ubyte v18, v0, s[0:1] offset:256
	global_load_ubyte v19, v0, s[0:1] offset:768
	;; [unrolled: 1-line block ×8, first 2 shown]
	global_load_ubyte v26, v0, s[0:1]
	global_load_ubyte v27, v0, s[0:1] offset:512
	global_load_ubyte v28, v0, s[0:1] offset:1024
	;; [unrolled: 1-line block ×7, first 2 shown]
	v_cvt_f32_u32_e32 v17, s4
	s_lshl_b64 s[0:1], s[6:7], 2
	s_add_u32 s0, s2, s0
	s_addc_u32 s1, s3, s1
	v_rcp_iflag_f32_e32 v34, v17
	s_sub_i32 s3, 0, s4
	s_load_dword s2, s[0:1], 0x0
	v_lshlrev_b32_e32 v1, 4, v0
	v_mul_f32_e32 v34, 0x4f7ffffe, v34
	v_cvt_u32_f32_e32 v34, v34
	s_movk_i32 s11, 0xff00
	v_cmp_ne_u32_e32 vcc, 0, v0
	v_add_u32_e32 v2, -1, v0
	v_readfirstlane_b32 s0, v34
	s_mul_i32 s3, s3, s0
	s_mul_hi_u32 s1, s0, s3
	s_add_i32 s0, s0, s1
	s_lshr_b32 s0, s0, 20
	s_mul_i32 s1, s0, s4
	s_sub_i32 s1, 0x1000, s1
	s_add_i32 s3, s0, 1
	s_sub_i32 s5, s1, s4
	s_cmp_ge_u32 s1, s4
	s_cselect_b32 s0, s3, s0
	s_cselect_b32 s1, s5, s1
	s_add_i32 s3, s0, 1
	s_cmp_ge_u32 s1, s4
	s_cselect_b32 s0, s3, s0
	v_or_b32_e32 v3, 15, v1
	v_or_b32_e32 v4, 14, v1
	;; [unrolled: 1-line block ×15, first 2 shown]
	s_max_u32 s3, s4, 1
	s_add_i32 s4, s0, 1
	s_movk_i32 s5, 0xff
	s_mov_b32 s6, 0xffff0000
	s_mov_b32 s7, 0x3020104
	s_waitcnt vmcnt(15)
	v_lshlrev_b16_e32 v18, 8, v18
	s_waitcnt vmcnt(14)
	v_lshlrev_b16_e32 v19, 8, v19
	;; [unrolled: 2-line block ×8, first 2 shown]
	s_waitcnt vmcnt(7)
	v_or_b32_e32 v18, v26, v18
	s_waitcnt vmcnt(6)
	v_or_b32_sdwa v19, v27, v19 dst_sel:WORD_1 dst_unused:UNUSED_PAD src0_sel:DWORD src1_sel:DWORD
	s_waitcnt vmcnt(5)
	v_or_b32_e32 v20, v28, v20
	s_waitcnt vmcnt(4)
	v_or_b32_sdwa v26, v29, v21 dst_sel:WORD_1 dst_unused:UNUSED_PAD src0_sel:DWORD src1_sel:DWORD
	;; [unrolled: 4-line block ×4, first 2 shown]
	v_or_b32_sdwa v21, v18, v19 dst_sel:DWORD dst_unused:UNUSED_PAD src0_sel:WORD_0 src1_sel:DWORD
	v_or_b32_sdwa v19, v20, v26 dst_sel:DWORD dst_unused:UNUSED_PAD src0_sel:WORD_0 src1_sel:DWORD
	;; [unrolled: 1-line block ×4, first 2 shown]
                                        ; implicit-def: $vgpr18
                                        ; implicit-def: $vgpr30
                                        ; implicit-def: $vgpr33
                                        ; implicit-def: $vgpr25
                                        ; implicit-def: $vgpr23
                                        ; implicit-def: $vgpr31
                                        ; implicit-def: $vgpr32
	s_branch .LBB136_2
.LBB136_1:                              ;   in Loop: Header=BB136_2 Depth=1
	s_or_b64 exec, exec, s[0:1]
	v_lshrrev_b32_e32 v35, 8, v18
	v_add_u16_e32 v35, v35, v33
	v_lshrrev_b32_e32 v33, 24, v18
	v_lshrrev_b32_e32 v25, 16, v30
	v_add_u16_e32 v34, v18, v21
	v_add_u16_sdwa v36, v33, v21 dst_sel:DWORD dst_unused:UNUSED_PAD src0_sel:DWORD src1_sel:BYTE_3
	v_lshrrev_b32_e32 v21, 24, v30
	v_add_u16_e32 v37, v30, v19
	v_add_u16_sdwa v38, v25, v19 dst_sel:DWORD dst_unused:UNUSED_PAD src0_sel:DWORD src1_sel:WORD_1
	v_add_u16_sdwa v39, v21, v19 dst_sel:DWORD dst_unused:UNUSED_PAD src0_sel:DWORD src1_sel:BYTE_3
	v_lshrrev_b32_e32 v19, 8, v42
	v_add_u16_e32 v41, v19, v31
	v_lshrrev_b32_e32 v19, 24, v42
	v_add_u16_sdwa v27, v18, v27 dst_sel:DWORD dst_unused:UNUSED_PAD src0_sel:WORD_1 src1_sel:DWORD
	v_lshrrev_b32_e32 v33, 8, v30
	v_add_u16_e32 v40, v42, v20
	v_add_u16_sdwa v24, v42, v24 dst_sel:DWORD dst_unused:UNUSED_PAD src0_sel:WORD_1 src1_sel:DWORD
	v_add_u16_sdwa v42, v19, v20 dst_sel:DWORD dst_unused:UNUSED_PAD src0_sel:DWORD src1_sel:BYTE_3
	v_lshlrev_b16_e32 v19, 8, v35
	v_lshlrev_b16_e32 v20, 8, v36
	v_add_u16_e32 v29, v33, v29
	v_or_b32_sdwa v19, v34, v19 dst_sel:DWORD dst_unused:UNUSED_PAD src0_sel:BYTE_0 src1_sel:DWORD
	v_or_b32_sdwa v20, v27, v20 dst_sel:WORD_1 dst_unused:UNUSED_PAD src0_sel:BYTE_0 src1_sel:DWORD
	v_or_b32_sdwa v21, v19, v20 dst_sel:DWORD dst_unused:UNUSED_PAD src0_sel:WORD_0 src1_sel:DWORD
	v_lshlrev_b16_e32 v19, 8, v29
	v_lshlrev_b16_e32 v20, 8, v39
	v_lshrrev_b32_e32 v32, 16, v23
	v_or_b32_sdwa v19, v37, v19 dst_sel:DWORD dst_unused:UNUSED_PAD src0_sel:BYTE_0 src1_sel:DWORD
	v_or_b32_sdwa v20, v38, v20 dst_sel:WORD_1 dst_unused:UNUSED_PAD src0_sel:BYTE_0 src1_sel:DWORD
	v_add_u16_e32 v43, v23, v22
	v_lshrrev_b32_e32 v31, 8, v23
	v_add_u16_sdwa v44, v32, v22 dst_sel:DWORD dst_unused:UNUSED_PAD src0_sel:DWORD src1_sel:WORD_1
	v_or_b32_sdwa v19, v19, v20 dst_sel:DWORD dst_unused:UNUSED_PAD src0_sel:WORD_0 src1_sel:DWORD
	v_lshlrev_b16_e32 v20, 8, v41
	v_lshlrev_b16_e32 v22, 8, v42
	v_add_u16_e32 v26, v31, v26
	v_add_u16_sdwa v28, v23, v28 dst_sel:DWORD dst_unused:UNUSED_PAD src0_sel:BYTE_3 src1_sel:DWORD
	v_or_b32_sdwa v20, v40, v20 dst_sel:DWORD dst_unused:UNUSED_PAD src0_sel:BYTE_0 src1_sel:DWORD
	v_or_b32_sdwa v22, v24, v22 dst_sel:WORD_1 dst_unused:UNUSED_PAD src0_sel:BYTE_0 src1_sel:DWORD
	s_add_i32 s0, s4, s2
	v_or_b32_sdwa v20, v20, v22 dst_sel:DWORD dst_unused:UNUSED_PAD src0_sel:WORD_0 src1_sel:DWORD
	v_lshlrev_b16_e32 v22, 8, v26
	v_lshlrev_b16_e32 v45, 8, v28
	s_and_b32 s2, s0, 0xfff
	v_or_b32_sdwa v22, v43, v22 dst_sel:DWORD dst_unused:UNUSED_PAD src0_sel:BYTE_0 src1_sel:DWORD
	v_or_b32_sdwa v45, v44, v45 dst_sel:WORD_1 dst_unused:UNUSED_PAD src0_sel:BYTE_0 src1_sel:DWORD
	s_add_i32 s3, s3, -1
	s_cmp_lg_u32 s3, 0
	v_or_b32_sdwa v22, v22, v45 dst_sel:DWORD dst_unused:UNUSED_PAD src0_sel:WORD_0 src1_sel:DWORD
	s_barrier
	s_cbranch_scc0 .LBB136_4
.LBB136_2:                              ; =>This Inner Loop Header: Depth=1
	v_lshlrev_b16_e32 v26, 8, v33
	v_lshlrev_b16_e32 v28, 8, v31
	v_or_b32_sdwa v30, v30, v26 dst_sel:DWORD dst_unused:UNUSED_PAD src0_sel:BYTE_0 src1_sel:DWORD
	v_and_b32_e32 v26, 0xffffff00, v22
	v_or_b32_sdwa v23, v23, v28 dst_sel:DWORD dst_unused:UNUSED_PAD src0_sel:BYTE_0 src1_sel:DWORD
	v_lshrrev_b32_e32 v28, 24, v22
	v_or_b32_sdwa v31, v23, v26 dst_sel:DWORD dst_unused:UNUSED_PAD src0_sel:BYTE_0 src1_sel:DWORD
	v_and_b32_sdwa v26, v22, s11 dst_sel:DWORD dst_unused:UNUSED_PAD src0_sel:WORD_1 src1_sel:DWORD
	v_sub_u16_sdwa v41, v28, v22 dst_sel:BYTE_1 dst_unused:UNUSED_PAD src0_sel:DWORD src1_sel:WORD_1
	v_or_b32_sdwa v37, v32, v26 dst_sel:DWORD dst_unused:UNUSED_PAD src0_sel:BYTE_0 src1_sel:DWORD
	v_or_b32_sdwa v32, v32, v41 dst_sel:DWORD dst_unused:UNUSED_PAD src0_sel:BYTE_0 src1_sel:DWORD
	s_waitcnt lgkmcnt(0)
	v_cmp_gt_u32_e64 s[0:1], s2, v3
	v_lshrrev_b32_e32 v26, 8, v22
	v_cndmask_b32_e64 v32, v37, v32, s[0:1]
	v_and_b32_sdwa v38, v22, s5 dst_sel:DWORD dst_unused:UNUSED_PAD src0_sel:WORD_1 src1_sel:DWORD
	v_and_b32_e32 v32, 0xffffff00, v32
	v_sub_u16_sdwa v37, v22, v26 dst_sel:DWORD dst_unused:UNUSED_PAD src0_sel:WORD_1 src1_sel:DWORD
	v_or_b32_sdwa v37, v37, v32 dst_sel:DWORD dst_unused:UNUSED_PAD src0_sel:BYTE_0 src1_sel:DWORD
	v_or_b32_e32 v32, v38, v32
	v_cmp_gt_u32_e64 s[0:1], s2, v4
	v_cndmask_b32_e64 v32, v32, v37, s[0:1]
	v_sub_u16_sdwa v37, v26, v22 dst_sel:BYTE_1 dst_unused:UNUSED_PAD src0_sel:DWORD src1_sel:DWORD
	v_and_b32_e32 v40, 0xffff, v23
	v_or_b32_sdwa v23, v23, v37 dst_sel:DWORD dst_unused:UNUSED_PAD src0_sel:BYTE_0 src1_sel:DWORD
	v_and_b32_e32 v31, 0xffff, v31
	v_and_b32_e32 v23, 0xffff, v23
	v_cmp_gt_u32_e64 s[0:1], s2, v5
	v_and_b32_e32 v24, 0xffffff00, v21
	v_cndmask_b32_e64 v23, v31, v23, s[0:1]
	v_or_b32_sdwa v34, v18, v24 dst_sel:DWORD dst_unused:UNUSED_PAD src0_sel:BYTE_0 src1_sel:DWORD
	v_and_b32_e32 v24, 0xffffff00, v19
	v_and_b32_e32 v23, 0xffffff00, v23
	v_sub_u16_sdwa v31, v22, v20 dst_sel:DWORD dst_unused:UNUSED_PAD src0_sel:DWORD src1_sel:BYTE_3
	v_or_b32_sdwa v33, v30, v24 dst_sel:DWORD dst_unused:UNUSED_PAD src0_sel:BYTE_0 src1_sel:DWORD
	v_and_b32_sdwa v24, v19, s11 dst_sel:DWORD dst_unused:UNUSED_PAD src0_sel:WORD_1 src1_sel:DWORD
	v_or_b32_sdwa v31, v31, v23 dst_sel:DWORD dst_unused:UNUSED_PAD src0_sel:BYTE_0 src1_sel:DWORD
	v_or_b32_sdwa v23, v22, v23 dst_sel:DWORD dst_unused:UNUSED_PAD src0_sel:BYTE_0 src1_sel:DWORD
	;; [unrolled: 1-line block ×3, first 2 shown]
	v_lshrrev_b32_e32 v24, 16, v20
	v_and_b32_e32 v23, 0xffff, v23
	v_and_b32_e32 v31, 0xffff, v31
	v_cmp_gt_u32_e64 s[0:1], s2, v6
	v_cndmask_b32_e64 v23, v23, v31, s[0:1]
	v_sub_u16_sdwa v31, v20, v24 dst_sel:BYTE_1 dst_unused:UNUSED_PAD src0_sel:BYTE_3 src1_sel:DWORD
	v_cmp_gt_u32_e64 s[0:1], s2, v7
	v_lshl_or_b32 v32, v32, 16, v40
	v_cndmask_b32_e64 v31, v24, v31, s[0:1]
	v_and_or_b32 v23, v32, s6, v23
	v_and_b32_e32 v32, 0xffffff00, v31
	v_lshrrev_b32_e32 v31, 8, v20
	v_sub_u16_e32 v37, v24, v31
	v_or_b32_sdwa v37, v37, v32 dst_sel:DWORD dst_unused:UNUSED_PAD src0_sel:BYTE_0 src1_sel:DWORD
	v_or_b32_sdwa v32, v24, v32 dst_sel:DWORD dst_unused:UNUSED_PAD src0_sel:BYTE_0 src1_sel:DWORD
	v_cmp_gt_u32_e64 s[0:1], s2, v8
	v_cndmask_b32_e64 v32, v32, v37, s[0:1]
	v_sub_u16_sdwa v37, v31, v20 dst_sel:BYTE_1 dst_unused:UNUSED_PAD src0_sel:DWORD src1_sel:DWORD
	v_cmp_gt_u32_e64 s[0:1], s2, v9
	v_cndmask_b32_e64 v37, v20, v37, s[0:1]
	v_and_b32_e32 v37, 0xffffff00, v37
	v_sub_u16_sdwa v38, v20, v19 dst_sel:DWORD dst_unused:UNUSED_PAD src0_sel:DWORD src1_sel:BYTE_3
	v_or_b32_sdwa v38, v38, v37 dst_sel:DWORD dst_unused:UNUSED_PAD src0_sel:BYTE_0 src1_sel:DWORD
	v_or_b32_sdwa v37, v20, v37 dst_sel:DWORD dst_unused:UNUSED_PAD src0_sel:BYTE_0 src1_sel:DWORD
	v_and_b32_e32 v37, 0xffff, v37
	v_and_b32_e32 v38, 0xffff, v38
	v_cmp_gt_u32_e64 s[0:1], s2, v10
	v_cndmask_b32_e64 v37, v37, v38, s[0:1]
	v_lshl_or_b32 v32, v32, 16, v37
	v_sub_u16_sdwa v37, v19, v19 dst_sel:BYTE_1 dst_unused:UNUSED_PAD src0_sel:BYTE_3 src1_sel:WORD_1
	v_or_b32_sdwa v25, v25, v37 dst_sel:DWORD dst_unused:UNUSED_PAD src0_sel:BYTE_0 src1_sel:DWORD
	v_cmp_gt_u32_e64 s[0:1], s2, v11
	v_lshrrev_b32_e32 v29, 8, v19
	v_cndmask_b32_e64 v25, v35, v25, s[0:1]
	v_and_b32_sdwa v36, v19, s5 dst_sel:DWORD dst_unused:UNUSED_PAD src0_sel:WORD_1 src1_sel:DWORD
	v_and_b32_e32 v25, 0xffffff00, v25
	v_sub_u16_sdwa v35, v19, v29 dst_sel:DWORD dst_unused:UNUSED_PAD src0_sel:WORD_1 src1_sel:DWORD
	v_or_b32_sdwa v35, v35, v25 dst_sel:DWORD dst_unused:UNUSED_PAD src0_sel:BYTE_0 src1_sel:DWORD
	v_or_b32_e32 v25, v36, v25
	v_cmp_gt_u32_e64 s[0:1], s2, v12
	v_cndmask_b32_e64 v25, v25, v35, s[0:1]
	v_sub_u16_sdwa v35, v29, v19 dst_sel:BYTE_1 dst_unused:UNUSED_PAD src0_sel:DWORD src1_sel:DWORD
	v_and_b32_e32 v39, 0xffff, v30
	v_or_b32_sdwa v30, v30, v35 dst_sel:DWORD dst_unused:UNUSED_PAD src0_sel:BYTE_0 src1_sel:DWORD
	v_and_b32_e32 v33, 0xffff, v33
	v_and_b32_e32 v30, 0xffff, v30
	v_cmp_gt_u32_e64 s[0:1], s2, v13
	v_cndmask_b32_e64 v30, v33, v30, s[0:1]
	v_and_b32_e32 v30, 0xffffff00, v30
	v_sub_u16_sdwa v33, v19, v21 dst_sel:DWORD dst_unused:UNUSED_PAD src0_sel:DWORD src1_sel:BYTE_3
	v_or_b32_sdwa v33, v33, v30 dst_sel:DWORD dst_unused:UNUSED_PAD src0_sel:BYTE_0 src1_sel:DWORD
	v_or_b32_sdwa v30, v19, v30 dst_sel:DWORD dst_unused:UNUSED_PAD src0_sel:BYTE_0 src1_sel:DWORD
	v_and_b32_e32 v30, 0xffff, v30
	v_and_b32_e32 v33, 0xffff, v33
	v_cmp_gt_u32_e64 s[0:1], s2, v14
	v_lshrrev_b32_e32 v27, 16, v21
	v_lshl_or_b32 v25, v25, 16, v39
	v_cndmask_b32_e64 v30, v30, v33, s[0:1]
	v_and_or_b32 v30, v25, s6, v30
	v_sub_u16_sdwa v25, v21, v27 dst_sel:BYTE_1 dst_unused:UNUSED_PAD src0_sel:BYTE_3 src1_sel:DWORD
	v_cmp_gt_u32_e64 s[0:1], s2, v15
	v_cndmask_b32_e64 v25, v27, v25, s[0:1]
	v_lshrrev_b32_e32 v33, 8, v21
	v_and_b32_e32 v25, 0xffffff00, v25
	v_sub_u16_e32 v35, v27, v33
	v_or_b32_sdwa v35, v35, v25 dst_sel:DWORD dst_unused:UNUSED_PAD src0_sel:BYTE_0 src1_sel:DWORD
	v_or_b32_sdwa v25, v27, v25 dst_sel:DWORD dst_unused:UNUSED_PAD src0_sel:BYTE_0 src1_sel:DWORD
	v_cmp_gt_u32_e64 s[0:1], s2, v16
	v_cndmask_b32_e64 v25, v25, v35, s[0:1]
	v_sub_u16_sdwa v35, v33, v21 dst_sel:BYTE_1 dst_unused:UNUSED_PAD src0_sel:DWORD src1_sel:DWORD
	v_or_b32_sdwa v18, v18, v35 dst_sel:DWORD dst_unused:UNUSED_PAD src0_sel:BYTE_0 src1_sel:DWORD
	v_and_b32_e32 v34, 0xffff, v34
	v_and_b32_e32 v18, 0xffff, v18
	v_cmp_gt_u32_e64 s[0:1], s2, v17
	v_cndmask_b32_e64 v18, v34, v18, s[0:1]
	v_lshl_or_b32 v18, v25, 16, v18
	v_cmp_gt_u32_e64 s[0:1], s2, v1
	v_perm_b32 v18, v21, v18, s7
	s_and_b64 s[12:13], vcc, s[0:1]
	v_perm_b32 v42, v32, v32, s7
	ds_write_b8 v0, v28
	s_waitcnt lgkmcnt(0)
	s_barrier
	s_and_saveexec_b64 s[0:1], s[12:13]
	s_cbranch_execz .LBB136_1
; %bb.3:                                ;   in Loop: Header=BB136_2 Depth=1
	ds_read_u8 v25, v2
	v_mov_b32_e32 v42, v32
	s_waitcnt lgkmcnt(0)
	v_sub_u16_e32 v25, v21, v25
	v_perm_b32 v18, v25, v18, s7
	s_branch .LBB136_1
.LBB136_4:
	s_add_u32 s0, s8, s10
	s_addc_u32 s1, s9, 0
	v_mov_b32_e32 v1, s1
	v_add_co_u32_e32 v0, vcc, s0, v0
	v_addc_co_u32_e32 v1, vcc, 0, v1, vcc
	global_store_byte v[0:1], v34, off
	global_store_byte v[0:1], v35, off offset:256
	global_store_byte v[0:1], v27, off offset:512
	;; [unrolled: 1-line block ×15, first 2 shown]
	s_endpgm
	.section	.rodata,"a",@progbits
	.p2align	6, 0x0
	.amdhsa_kernel _Z6kernelI26subtract_left_partial_tileLj256ELj16ELb0EJPaPiS1_jEEvDpT3_
		.amdhsa_group_segment_fixed_size 512
		.amdhsa_private_segment_fixed_size 0
		.amdhsa_kernarg_size 28
		.amdhsa_user_sgpr_count 6
		.amdhsa_user_sgpr_private_segment_buffer 1
		.amdhsa_user_sgpr_dispatch_ptr 0
		.amdhsa_user_sgpr_queue_ptr 0
		.amdhsa_user_sgpr_kernarg_segment_ptr 1
		.amdhsa_user_sgpr_dispatch_id 0
		.amdhsa_user_sgpr_flat_scratch_init 0
		.amdhsa_user_sgpr_kernarg_preload_length 0
		.amdhsa_user_sgpr_kernarg_preload_offset 0
		.amdhsa_user_sgpr_private_segment_size 0
		.amdhsa_uses_dynamic_stack 0
		.amdhsa_system_sgpr_private_segment_wavefront_offset 0
		.amdhsa_system_sgpr_workgroup_id_x 1
		.amdhsa_system_sgpr_workgroup_id_y 0
		.amdhsa_system_sgpr_workgroup_id_z 0
		.amdhsa_system_sgpr_workgroup_info 0
		.amdhsa_system_vgpr_workitem_id 0
		.amdhsa_next_free_vgpr 46
		.amdhsa_next_free_sgpr 14
		.amdhsa_accum_offset 48
		.amdhsa_reserve_vcc 1
		.amdhsa_reserve_flat_scratch 0
		.amdhsa_float_round_mode_32 0
		.amdhsa_float_round_mode_16_64 0
		.amdhsa_float_denorm_mode_32 3
		.amdhsa_float_denorm_mode_16_64 3
		.amdhsa_dx10_clamp 1
		.amdhsa_ieee_mode 1
		.amdhsa_fp16_overflow 0
		.amdhsa_tg_split 0
		.amdhsa_exception_fp_ieee_invalid_op 0
		.amdhsa_exception_fp_denorm_src 0
		.amdhsa_exception_fp_ieee_div_zero 0
		.amdhsa_exception_fp_ieee_overflow 0
		.amdhsa_exception_fp_ieee_underflow 0
		.amdhsa_exception_fp_ieee_inexact 0
		.amdhsa_exception_int_div_zero 0
	.end_amdhsa_kernel
	.section	.text._Z6kernelI26subtract_left_partial_tileLj256ELj16ELb0EJPaPiS1_jEEvDpT3_,"axG",@progbits,_Z6kernelI26subtract_left_partial_tileLj256ELj16ELb0EJPaPiS1_jEEvDpT3_,comdat
.Lfunc_end136:
	.size	_Z6kernelI26subtract_left_partial_tileLj256ELj16ELb0EJPaPiS1_jEEvDpT3_, .Lfunc_end136-_Z6kernelI26subtract_left_partial_tileLj256ELj16ELb0EJPaPiS1_jEEvDpT3_
                                        ; -- End function
	.section	.AMDGPU.csdata,"",@progbits
; Kernel info:
; codeLenInByte = 1956
; NumSgprs: 18
; NumVgprs: 46
; NumAgprs: 0
; TotalNumVgprs: 46
; ScratchSize: 0
; MemoryBound: 0
; FloatMode: 240
; IeeeMode: 1
; LDSByteSize: 512 bytes/workgroup (compile time only)
; SGPRBlocks: 2
; VGPRBlocks: 5
; NumSGPRsForWavesPerEU: 18
; NumVGPRsForWavesPerEU: 46
; AccumOffset: 48
; Occupancy: 8
; WaveLimiterHint : 1
; COMPUTE_PGM_RSRC2:SCRATCH_EN: 0
; COMPUTE_PGM_RSRC2:USER_SGPR: 6
; COMPUTE_PGM_RSRC2:TRAP_HANDLER: 0
; COMPUTE_PGM_RSRC2:TGID_X_EN: 1
; COMPUTE_PGM_RSRC2:TGID_Y_EN: 0
; COMPUTE_PGM_RSRC2:TGID_Z_EN: 0
; COMPUTE_PGM_RSRC2:TIDIG_COMP_CNT: 0
; COMPUTE_PGM_RSRC3_GFX90A:ACCUM_OFFSET: 11
; COMPUTE_PGM_RSRC3_GFX90A:TG_SPLIT: 0
	.section	.text._Z6kernelI26subtract_left_partial_tileLj256ELj32ELb0EJPaPiS1_jEEvDpT3_,"axG",@progbits,_Z6kernelI26subtract_left_partial_tileLj256ELj32ELb0EJPaPiS1_jEEvDpT3_,comdat
	.protected	_Z6kernelI26subtract_left_partial_tileLj256ELj32ELb0EJPaPiS1_jEEvDpT3_ ; -- Begin function _Z6kernelI26subtract_left_partial_tileLj256ELj32ELb0EJPaPiS1_jEEvDpT3_
	.globl	_Z6kernelI26subtract_left_partial_tileLj256ELj32ELb0EJPaPiS1_jEEvDpT3_
	.p2align	8
	.type	_Z6kernelI26subtract_left_partial_tileLj256ELj32ELb0EJPaPiS1_jEEvDpT3_,@function
_Z6kernelI26subtract_left_partial_tileLj256ELj32ELb0EJPaPiS1_jEEvDpT3_: ; @_Z6kernelI26subtract_left_partial_tileLj256ELj32ELb0EJPaPiS1_jEEvDpT3_
; %bb.0:
	s_load_dwordx4 s[0:3], s[4:5], 0x0
	s_load_dwordx2 s[8:9], s[4:5], 0x10
	s_lshl_b32 s10, s6, 13
	s_load_dword s4, s[4:5], 0x18
	s_mov_b32 s7, 0
	s_waitcnt lgkmcnt(0)
	s_add_u32 s0, s0, s10
	s_addc_u32 s1, s1, 0
	v_mov_b32_e32 v1, s1
	v_add_co_u32_e32 v2, vcc, s0, v0
	v_addc_co_u32_e32 v1, vcc, 0, v1, vcc
	global_load_ubyte v32, v0, s[0:1]
	global_load_ubyte v31, v0, s[0:1] offset:256
	global_load_ubyte v30, v0, s[0:1] offset:512
	;; [unrolled: 1-line block ×15, first 2 shown]
	s_movk_i32 s0, 0x1000
	v_add_co_u32_e32 v34, vcc, s0, v2
	v_addc_co_u32_e32 v35, vcc, 0, v1, vcc
	global_load_ubyte v16, v[34:35], off
	global_load_ubyte v15, v[34:35], off offset:256
	global_load_ubyte v14, v[34:35], off offset:512
	;; [unrolled: 1-line block ×15, first 2 shown]
	v_cvt_f32_u32_e32 v33, s4
	s_lshl_b64 s[0:1], s[6:7], 2
	s_add_u32 s0, s2, s0
	s_addc_u32 s1, s3, s1
	v_rcp_iflag_f32_e32 v33, v33
	s_load_dword s2, s[0:1], 0x0
	s_sub_i32 s0, 0, s4
	v_cmp_ne_u32_e32 vcc, 0, v0
	v_mul_f32_e32 v33, 0x4f7ffffe, v33
	v_cvt_u32_f32_e32 v33, v33
	v_add_u32_e32 v65, -1, v0
	v_readfirstlane_b32 s1, v33
	s_mul_i32 s0, s0, s1
	s_mul_hi_u32 s0, s1, s0
	s_add_i32 s1, s1, s0
	s_lshr_b32 s0, s1, 19
	s_mul_i32 s1, s0, s4
	s_sub_i32 s1, 0x2000, s1
	s_add_i32 s3, s0, 1
	s_sub_i32 s5, s1, s4
	s_cmp_ge_u32 s1, s4
	s_cselect_b32 s0, s3, s0
	s_cselect_b32 s1, s5, s1
	s_add_i32 s3, s0, 1
	s_cmp_ge_u32 s1, s4
	s_cselect_b32 s3, s3, s0
	v_lshlrev_b32_e32 v33, 5, v0
	s_add_i32 s3, s3, 1
	v_or_b32_e32 v34, 31, v33
	v_or_b32_e32 v35, 30, v33
	;; [unrolled: 1-line block ×18, first 2 shown]
	s_max_u32 s4, s4, 1
	v_or_b32_e32 v52, 13, v33
	v_or_b32_e32 v53, 12, v33
	;; [unrolled: 1-line block ×13, first 2 shown]
	s_branch .LBB137_2
.LBB137_1:                              ;   in Loop: Header=BB137_2 Depth=1
	s_or_b64 exec, exec, s[0:1]
	v_cmp_gt_u32_e64 s[0:1], s2, v34
	v_cndmask_b32_e64 v67, 0, v2, s[0:1]
	v_cmp_gt_u32_e64 s[0:1], s2, v35
	v_cndmask_b32_e64 v68, 0, v3, s[0:1]
	;; [unrolled: 2-line block ×4, first 2 shown]
	v_cmp_gt_u32_e64 s[0:1], s2, v63
	v_add_u16_e32 v32, v66, v32
	v_cndmask_b32_e64 v66, 0, v31, s[0:1]
	v_sub_u16_e32 v70, v31, v70
	v_cmp_gt_u32_e64 s[0:1], s2, v62
	v_add_u16_e32 v31, v70, v31
	v_cndmask_b32_e64 v70, 0, v30, s[0:1]
	v_sub_u16_e32 v66, v30, v66
	;; [unrolled: 4-line block ×26, first 2 shown]
	v_cmp_gt_u32_e64 s[0:1], s2, v37
	v_add_u16_e32 v6, v66, v6
	v_cndmask_b32_e64 v66, 0, v5, s[0:1]
	s_add_i32 s0, s3, s2
	v_sub_u16_e32 v67, v1, v67
	v_sub_u16_e32 v68, v2, v68
	;; [unrolled: 1-line block ×5, first 2 shown]
	s_and_b32 s2, s0, 0x1fff
	s_add_i32 s4, s4, -1
	v_add_u16_e32 v5, v70, v5
	v_add_u16_e32 v4, v66, v4
	;; [unrolled: 1-line block ×5, first 2 shown]
	s_cmp_lg_u32 s4, 0
	s_barrier
	s_cbranch_scc0 .LBB137_4
.LBB137_2:                              ; =>This Inner Loop Header: Depth=1
	s_waitcnt lgkmcnt(0)
	v_cmp_gt_u32_e64 s[0:1], s2, v33
	s_and_b64 s[6:7], vcc, s[0:1]
	s_waitcnt vmcnt(31)
	v_mov_b32_e32 v66, v32
	s_waitcnt vmcnt(0)
	ds_write_b8 v0, v1
	s_waitcnt lgkmcnt(0)
	s_barrier
	s_and_saveexec_b64 s[0:1], s[6:7]
	s_cbranch_execz .LBB137_1
; %bb.3:                                ;   in Loop: Header=BB137_2 Depth=1
	ds_read_u8 v66, v65
	s_waitcnt lgkmcnt(0)
	v_sub_u16_e32 v66, v32, v66
	s_branch .LBB137_1
.LBB137_4:
	s_add_u32 s0, s8, s10
	s_addc_u32 s1, s9, 0
	v_mov_b32_e32 v33, s1
	v_add_co_u32_e32 v34, vcc, s0, v0
	v_addc_co_u32_e32 v35, vcc, 0, v33, vcc
	s_movk_i32 s0, 0x1000
	global_store_byte v[34:35], v32, off
	global_store_byte v[34:35], v31, off offset:256
	global_store_byte v[34:35], v30, off offset:512
	;; [unrolled: 1-line block ×15, first 2 shown]
	v_add_co_u32_e32 v18, vcc, s0, v34
	v_addc_co_u32_e32 v19, vcc, 0, v35, vcc
	global_store_byte v[18:19], v16, off
	global_store_byte v[18:19], v15, off offset:256
	global_store_byte v[18:19], v14, off offset:512
	;; [unrolled: 1-line block ×15, first 2 shown]
	s_endpgm
	.section	.rodata,"a",@progbits
	.p2align	6, 0x0
	.amdhsa_kernel _Z6kernelI26subtract_left_partial_tileLj256ELj32ELb0EJPaPiS1_jEEvDpT3_
		.amdhsa_group_segment_fixed_size 512
		.amdhsa_private_segment_fixed_size 0
		.amdhsa_kernarg_size 28
		.amdhsa_user_sgpr_count 6
		.amdhsa_user_sgpr_private_segment_buffer 1
		.amdhsa_user_sgpr_dispatch_ptr 0
		.amdhsa_user_sgpr_queue_ptr 0
		.amdhsa_user_sgpr_kernarg_segment_ptr 1
		.amdhsa_user_sgpr_dispatch_id 0
		.amdhsa_user_sgpr_flat_scratch_init 0
		.amdhsa_user_sgpr_kernarg_preload_length 0
		.amdhsa_user_sgpr_kernarg_preload_offset 0
		.amdhsa_user_sgpr_private_segment_size 0
		.amdhsa_uses_dynamic_stack 0
		.amdhsa_system_sgpr_private_segment_wavefront_offset 0
		.amdhsa_system_sgpr_workgroup_id_x 1
		.amdhsa_system_sgpr_workgroup_id_y 0
		.amdhsa_system_sgpr_workgroup_id_z 0
		.amdhsa_system_sgpr_workgroup_info 0
		.amdhsa_system_vgpr_workitem_id 0
		.amdhsa_next_free_vgpr 71
		.amdhsa_next_free_sgpr 11
		.amdhsa_accum_offset 72
		.amdhsa_reserve_vcc 1
		.amdhsa_reserve_flat_scratch 0
		.amdhsa_float_round_mode_32 0
		.amdhsa_float_round_mode_16_64 0
		.amdhsa_float_denorm_mode_32 3
		.amdhsa_float_denorm_mode_16_64 3
		.amdhsa_dx10_clamp 1
		.amdhsa_ieee_mode 1
		.amdhsa_fp16_overflow 0
		.amdhsa_tg_split 0
		.amdhsa_exception_fp_ieee_invalid_op 0
		.amdhsa_exception_fp_denorm_src 0
		.amdhsa_exception_fp_ieee_div_zero 0
		.amdhsa_exception_fp_ieee_overflow 0
		.amdhsa_exception_fp_ieee_underflow 0
		.amdhsa_exception_fp_ieee_inexact 0
		.amdhsa_exception_int_div_zero 0
	.end_amdhsa_kernel
	.section	.text._Z6kernelI26subtract_left_partial_tileLj256ELj32ELb0EJPaPiS1_jEEvDpT3_,"axG",@progbits,_Z6kernelI26subtract_left_partial_tileLj256ELj32ELb0EJPaPiS1_jEEvDpT3_,comdat
.Lfunc_end137:
	.size	_Z6kernelI26subtract_left_partial_tileLj256ELj32ELb0EJPaPiS1_jEEvDpT3_, .Lfunc_end137-_Z6kernelI26subtract_left_partial_tileLj256ELj32ELb0EJPaPiS1_jEEvDpT3_
                                        ; -- End function
	.section	.AMDGPU.csdata,"",@progbits
; Kernel info:
; codeLenInByte = 1724
; NumSgprs: 15
; NumVgprs: 71
; NumAgprs: 0
; TotalNumVgprs: 71
; ScratchSize: 0
; MemoryBound: 0
; FloatMode: 240
; IeeeMode: 1
; LDSByteSize: 512 bytes/workgroup (compile time only)
; SGPRBlocks: 1
; VGPRBlocks: 8
; NumSGPRsForWavesPerEU: 15
; NumVGPRsForWavesPerEU: 71
; AccumOffset: 72
; Occupancy: 7
; WaveLimiterHint : 1
; COMPUTE_PGM_RSRC2:SCRATCH_EN: 0
; COMPUTE_PGM_RSRC2:USER_SGPR: 6
; COMPUTE_PGM_RSRC2:TRAP_HANDLER: 0
; COMPUTE_PGM_RSRC2:TGID_X_EN: 1
; COMPUTE_PGM_RSRC2:TGID_Y_EN: 0
; COMPUTE_PGM_RSRC2:TGID_Z_EN: 0
; COMPUTE_PGM_RSRC2:TIDIG_COMP_CNT: 0
; COMPUTE_PGM_RSRC3_GFX90A:ACCUM_OFFSET: 17
; COMPUTE_PGM_RSRC3_GFX90A:TG_SPLIT: 0
	.section	.text._Z6kernelI26subtract_left_partial_tileLj256ELj1ELb0EJPxPiS1_jEEvDpT3_,"axG",@progbits,_Z6kernelI26subtract_left_partial_tileLj256ELj1ELb0EJPxPiS1_jEEvDpT3_,comdat
	.protected	_Z6kernelI26subtract_left_partial_tileLj256ELj1ELb0EJPxPiS1_jEEvDpT3_ ; -- Begin function _Z6kernelI26subtract_left_partial_tileLj256ELj1ELb0EJPxPiS1_jEEvDpT3_
	.globl	_Z6kernelI26subtract_left_partial_tileLj256ELj1ELb0EJPxPiS1_jEEvDpT3_
	.p2align	8
	.type	_Z6kernelI26subtract_left_partial_tileLj256ELj1ELb0EJPxPiS1_jEEvDpT3_,@function
_Z6kernelI26subtract_left_partial_tileLj256ELj1ELb0EJPxPiS1_jEEvDpT3_: ; @_Z6kernelI26subtract_left_partial_tileLj256ELj1ELb0EJPxPiS1_jEEvDpT3_
; %bb.0:
	s_load_dwordx4 s[12:15], s[4:5], 0x0
	s_load_dwordx2 s[2:3], s[4:5], 0x10
	s_lshl_b32 s0, s6, 8
	s_mov_b32 s1, 0
	s_lshl_b64 s[8:9], s[0:1], 3
	s_waitcnt lgkmcnt(0)
	s_add_u32 s10, s12, s8
	s_addc_u32 s11, s13, s9
	v_lshlrev_b32_e32 v1, 3, v0
	global_load_dwordx2 v[2:3], v1, s[10:11]
	s_load_dword s4, s[4:5], 0x18
	s_mov_b32 s7, s1
	s_lshl_b64 s[0:1], s[6:7], 2
	s_add_u32 s0, s14, s0
	s_addc_u32 s1, s15, s1
	s_waitcnt lgkmcnt(0)
	v_cvt_f32_u32_e32 v4, s4
	s_load_dword s6, s[0:1], 0x0
	s_sub_i32 s0, 0, s4
	v_cmp_ne_u32_e32 vcc, 0, v0
	v_rcp_iflag_f32_e32 v4, v4
	v_add_u32_e32 v6, -8, v1
	v_mul_f32_e32 v4, 0x4f7ffffe, v4
	v_cvt_u32_f32_e32 v4, v4
	v_readfirstlane_b32 s1, v4
	s_mul_i32 s0, s0, s1
	s_mul_hi_u32 s0, s1, s0
	s_add_i32 s1, s1, s0
	s_lshr_b32 s0, s1, 24
	s_mul_i32 s1, s0, s4
	s_sub_i32 s1, 0x100, s1
	s_add_i32 s5, s0, 1
	s_sub_i32 s7, s1, s4
	s_cmp_ge_u32 s1, s4
	s_cselect_b32 s0, s5, s0
	s_cselect_b32 s1, s7, s1
	s_add_i32 s5, s0, 1
	s_cmp_ge_u32 s1, s4
	s_cselect_b32 s7, s5, s0
	s_add_i32 s7, s7, 1
	s_max_u32 s10, s4, 1
	s_branch .LBB138_2
.LBB138_1:                              ;   in Loop: Header=BB138_2 Depth=1
	s_or_b64 exec, exec, s[4:5]
	v_add_co_u32_e64 v2, s[0:1], v4, v2
	v_addc_co_u32_e64 v3, s[0:1], v5, v3, s[0:1]
	s_add_i32 s0, s7, s6
	s_and_b32 s6, s0, 0xff
	s_add_i32 s10, s10, -1
	s_cmp_lg_u32 s10, 0
	s_barrier
	s_cbranch_scc0 .LBB138_4
.LBB138_2:                              ; =>This Inner Loop Header: Depth=1
	s_waitcnt lgkmcnt(0)
	v_cmp_gt_u32_e64 s[0:1], s6, v0
	s_and_b64 s[0:1], vcc, s[0:1]
	s_waitcnt vmcnt(0)
	v_pk_mov_b32 v[4:5], v[2:3], v[2:3] op_sel:[0,1]
	ds_write_b64 v1, v[2:3]
	s_waitcnt lgkmcnt(0)
	s_barrier
	s_and_saveexec_b64 s[4:5], s[0:1]
	s_cbranch_execz .LBB138_1
; %bb.3:                                ;   in Loop: Header=BB138_2 Depth=1
	ds_read_b64 v[4:5], v6
	s_waitcnt lgkmcnt(0)
	v_sub_co_u32_e64 v4, s[0:1], v2, v4
	v_subb_co_u32_e64 v5, s[0:1], v3, v5, s[0:1]
	s_branch .LBB138_1
.LBB138_4:
	s_add_u32 s0, s2, s8
	s_addc_u32 s1, s3, s9
	v_lshlrev_b32_e32 v0, 3, v0
	global_store_dwordx2 v0, v[2:3], s[0:1]
	s_endpgm
	.section	.rodata,"a",@progbits
	.p2align	6, 0x0
	.amdhsa_kernel _Z6kernelI26subtract_left_partial_tileLj256ELj1ELb0EJPxPiS1_jEEvDpT3_
		.amdhsa_group_segment_fixed_size 4096
		.amdhsa_private_segment_fixed_size 0
		.amdhsa_kernarg_size 28
		.amdhsa_user_sgpr_count 6
		.amdhsa_user_sgpr_private_segment_buffer 1
		.amdhsa_user_sgpr_dispatch_ptr 0
		.amdhsa_user_sgpr_queue_ptr 0
		.amdhsa_user_sgpr_kernarg_segment_ptr 1
		.amdhsa_user_sgpr_dispatch_id 0
		.amdhsa_user_sgpr_flat_scratch_init 0
		.amdhsa_user_sgpr_kernarg_preload_length 0
		.amdhsa_user_sgpr_kernarg_preload_offset 0
		.amdhsa_user_sgpr_private_segment_size 0
		.amdhsa_uses_dynamic_stack 0
		.amdhsa_system_sgpr_private_segment_wavefront_offset 0
		.amdhsa_system_sgpr_workgroup_id_x 1
		.amdhsa_system_sgpr_workgroup_id_y 0
		.amdhsa_system_sgpr_workgroup_id_z 0
		.amdhsa_system_sgpr_workgroup_info 0
		.amdhsa_system_vgpr_workitem_id 0
		.amdhsa_next_free_vgpr 7
		.amdhsa_next_free_sgpr 16
		.amdhsa_accum_offset 8
		.amdhsa_reserve_vcc 1
		.amdhsa_reserve_flat_scratch 0
		.amdhsa_float_round_mode_32 0
		.amdhsa_float_round_mode_16_64 0
		.amdhsa_float_denorm_mode_32 3
		.amdhsa_float_denorm_mode_16_64 3
		.amdhsa_dx10_clamp 1
		.amdhsa_ieee_mode 1
		.amdhsa_fp16_overflow 0
		.amdhsa_tg_split 0
		.amdhsa_exception_fp_ieee_invalid_op 0
		.amdhsa_exception_fp_denorm_src 0
		.amdhsa_exception_fp_ieee_div_zero 0
		.amdhsa_exception_fp_ieee_overflow 0
		.amdhsa_exception_fp_ieee_underflow 0
		.amdhsa_exception_fp_ieee_inexact 0
		.amdhsa_exception_int_div_zero 0
	.end_amdhsa_kernel
	.section	.text._Z6kernelI26subtract_left_partial_tileLj256ELj1ELb0EJPxPiS1_jEEvDpT3_,"axG",@progbits,_Z6kernelI26subtract_left_partial_tileLj256ELj1ELb0EJPxPiS1_jEEvDpT3_,comdat
.Lfunc_end138:
	.size	_Z6kernelI26subtract_left_partial_tileLj256ELj1ELb0EJPxPiS1_jEEvDpT3_, .Lfunc_end138-_Z6kernelI26subtract_left_partial_tileLj256ELj1ELb0EJPxPiS1_jEEvDpT3_
                                        ; -- End function
	.section	.AMDGPU.csdata,"",@progbits
; Kernel info:
; codeLenInByte = 352
; NumSgprs: 20
; NumVgprs: 7
; NumAgprs: 0
; TotalNumVgprs: 7
; ScratchSize: 0
; MemoryBound: 0
; FloatMode: 240
; IeeeMode: 1
; LDSByteSize: 4096 bytes/workgroup (compile time only)
; SGPRBlocks: 2
; VGPRBlocks: 0
; NumSGPRsForWavesPerEU: 20
; NumVGPRsForWavesPerEU: 7
; AccumOffset: 8
; Occupancy: 8
; WaveLimiterHint : 0
; COMPUTE_PGM_RSRC2:SCRATCH_EN: 0
; COMPUTE_PGM_RSRC2:USER_SGPR: 6
; COMPUTE_PGM_RSRC2:TRAP_HANDLER: 0
; COMPUTE_PGM_RSRC2:TGID_X_EN: 1
; COMPUTE_PGM_RSRC2:TGID_Y_EN: 0
; COMPUTE_PGM_RSRC2:TGID_Z_EN: 0
; COMPUTE_PGM_RSRC2:TIDIG_COMP_CNT: 0
; COMPUTE_PGM_RSRC3_GFX90A:ACCUM_OFFSET: 1
; COMPUTE_PGM_RSRC3_GFX90A:TG_SPLIT: 0
	.section	.text._Z6kernelI26subtract_left_partial_tileLj256ELj3ELb0EJPxPiS1_jEEvDpT3_,"axG",@progbits,_Z6kernelI26subtract_left_partial_tileLj256ELj3ELb0EJPxPiS1_jEEvDpT3_,comdat
	.protected	_Z6kernelI26subtract_left_partial_tileLj256ELj3ELb0EJPxPiS1_jEEvDpT3_ ; -- Begin function _Z6kernelI26subtract_left_partial_tileLj256ELj3ELb0EJPxPiS1_jEEvDpT3_
	.globl	_Z6kernelI26subtract_left_partial_tileLj256ELj3ELb0EJPxPiS1_jEEvDpT3_
	.p2align	8
	.type	_Z6kernelI26subtract_left_partial_tileLj256ELj3ELb0EJPxPiS1_jEEvDpT3_,@function
_Z6kernelI26subtract_left_partial_tileLj256ELj3ELb0EJPxPiS1_jEEvDpT3_: ; @_Z6kernelI26subtract_left_partial_tileLj256ELj3ELb0EJPxPiS1_jEEvDpT3_
; %bb.0:
	s_load_dwordx4 s[0:3], s[4:5], 0x0
	s_load_dwordx2 s[8:9], s[4:5], 0x10
	s_mul_i32 s12, s6, 0x300
	s_mov_b32 s13, 0
	s_lshl_b64 s[10:11], s[12:13], 3
	s_waitcnt lgkmcnt(0)
	s_add_u32 s0, s0, s10
	s_addc_u32 s1, s1, s11
	v_lshlrev_b32_e32 v1, 3, v0
	v_mov_b32_e32 v2, s1
	v_add_co_u32_e32 v6, vcc, s0, v1
	v_addc_co_u32_e32 v7, vcc, 0, v2, vcc
	global_load_dwordx2 v[2:3], v1, s[0:1]
	global_load_dwordx2 v[4:5], v1, s[0:1] offset:2048
	s_movk_i32 s0, 0x1000
	v_add_co_u32_e32 v6, vcc, s0, v6
	v_addc_co_u32_e32 v7, vcc, 0, v7, vcc
	global_load_dwordx2 v[6:7], v[6:7], off
	s_load_dword s12, s[4:5], 0x18
	s_mov_b32 s7, s13
	s_lshl_b64 s[0:1], s[6:7], 2
	s_add_u32 s0, s2, s0
	s_addc_u32 s1, s3, s1
	s_waitcnt lgkmcnt(0)
	v_cvt_f32_u32_e32 v8, s12
	s_load_dword s4, s[0:1], 0x0
	s_sub_i32 s0, 0, s12
	v_mul_u32_u24_e32 v10, 3, v0
	v_rcp_iflag_f32_e32 v8, v8
	v_mad_u32_u24 v11, v0, 3, 2
	v_mad_u32_u24 v12, v0, 3, 1
	v_cmp_ne_u32_e32 vcc, 0, v0
	v_mul_f32_e32 v8, 0x4f7ffffe, v8
	v_cvt_u32_f32_e32 v8, v8
	v_add_u32_e32 v13, -8, v1
	v_readfirstlane_b32 s1, v8
	s_mul_i32 s0, s0, s1
	s_mul_hi_u32 s0, s1, s0
	s_add_i32 s1, s1, s0
	s_mul_hi_u32 s0, s1, 0x300
	s_mul_i32 s1, s0, s12
	s_sub_i32 s1, 0x300, s1
	s_add_i32 s2, s0, 1
	s_sub_i32 s3, s1, s12
	s_cmp_ge_u32 s1, s12
	s_cselect_b32 s0, s2, s0
	s_cselect_b32 s1, s3, s1
	s_add_i32 s2, s0, 1
	s_cmp_ge_u32 s1, s12
	s_cselect_b32 s5, s2, s0
	s_add_i32 s5, s5, 1
	s_max_u32 s6, s12, 1
	s_branch .LBB139_2
.LBB139_1:                              ;   in Loop: Header=BB139_2 Depth=1
	s_or_b64 exec, exec, s[2:3]
	v_cmp_gt_u32_e64 s[0:1], s4, v11
	v_cndmask_b32_e64 v15, 0, v4, s[0:1]
	v_cndmask_b32_e64 v14, 0, v5, s[0:1]
	v_sub_co_u32_e64 v15, s[0:1], v6, v15
	v_subb_co_u32_e64 v14, s[0:1], v7, v14, s[0:1]
	v_cmp_gt_u32_e64 s[0:1], s4, v12
	v_cndmask_b32_e64 v17, 0, v2, s[0:1]
	v_cndmask_b32_e64 v16, 0, v3, s[0:1]
	v_sub_co_u32_e64 v17, s[0:1], v4, v17
	v_subb_co_u32_e64 v16, s[0:1], v5, v16, s[0:1]
	v_add_co_u32_e64 v2, s[0:1], v8, v2
	v_addc_co_u32_e64 v3, s[0:1], v9, v3, s[0:1]
	v_add_co_u32_e64 v4, s[0:1], v17, v4
	v_addc_co_u32_e64 v5, s[0:1], v16, v5, s[0:1]
	;; [unrolled: 2-line block ×3, first 2 shown]
	s_add_i32 s0, s5, s4
	s_mul_hi_u32 s1, s0, 0xaaaaaaab
	s_lshr_b32 s1, s1, 9
	s_mulk_i32 s1, 0x300
	s_sub_i32 s4, s0, s1
	s_add_i32 s6, s6, -1
	s_cmp_lg_u32 s6, 0
	s_barrier
	s_cbranch_scc0 .LBB139_4
.LBB139_2:                              ; =>This Inner Loop Header: Depth=1
	s_waitcnt lgkmcnt(0)
	v_cmp_gt_u32_e64 s[0:1], s4, v10
	s_and_b64 s[0:1], vcc, s[0:1]
	s_waitcnt vmcnt(2)
	v_pk_mov_b32 v[8:9], v[2:3], v[2:3] op_sel:[0,1]
	s_waitcnt vmcnt(0)
	ds_write_b64 v1, v[6:7]
	s_waitcnt lgkmcnt(0)
	s_barrier
	s_and_saveexec_b64 s[2:3], s[0:1]
	s_cbranch_execz .LBB139_1
; %bb.3:                                ;   in Loop: Header=BB139_2 Depth=1
	ds_read_b64 v[8:9], v13
	s_waitcnt lgkmcnt(0)
	v_sub_co_u32_e64 v8, s[0:1], v2, v8
	v_subb_co_u32_e64 v9, s[0:1], v3, v9, s[0:1]
	s_branch .LBB139_1
.LBB139_4:
	s_add_u32 s0, s8, s10
	s_addc_u32 s1, s9, s11
	v_lshlrev_b32_e32 v0, 3, v0
	v_mov_b32_e32 v1, s1
	v_add_co_u32_e32 v8, vcc, s0, v0
	v_addc_co_u32_e32 v1, vcc, 0, v1, vcc
	global_store_dwordx2 v0, v[2:3], s[0:1]
	global_store_dwordx2 v0, v[4:5], s[0:1] offset:2048
	v_add_co_u32_e32 v0, vcc, 0x1000, v8
	v_addc_co_u32_e32 v1, vcc, 0, v1, vcc
	global_store_dwordx2 v[0:1], v[6:7], off
	s_endpgm
	.section	.rodata,"a",@progbits
	.p2align	6, 0x0
	.amdhsa_kernel _Z6kernelI26subtract_left_partial_tileLj256ELj3ELb0EJPxPiS1_jEEvDpT3_
		.amdhsa_group_segment_fixed_size 4096
		.amdhsa_private_segment_fixed_size 0
		.amdhsa_kernarg_size 28
		.amdhsa_user_sgpr_count 6
		.amdhsa_user_sgpr_private_segment_buffer 1
		.amdhsa_user_sgpr_dispatch_ptr 0
		.amdhsa_user_sgpr_queue_ptr 0
		.amdhsa_user_sgpr_kernarg_segment_ptr 1
		.amdhsa_user_sgpr_dispatch_id 0
		.amdhsa_user_sgpr_flat_scratch_init 0
		.amdhsa_user_sgpr_kernarg_preload_length 0
		.amdhsa_user_sgpr_kernarg_preload_offset 0
		.amdhsa_user_sgpr_private_segment_size 0
		.amdhsa_uses_dynamic_stack 0
		.amdhsa_system_sgpr_private_segment_wavefront_offset 0
		.amdhsa_system_sgpr_workgroup_id_x 1
		.amdhsa_system_sgpr_workgroup_id_y 0
		.amdhsa_system_sgpr_workgroup_id_z 0
		.amdhsa_system_sgpr_workgroup_info 0
		.amdhsa_system_vgpr_workitem_id 0
		.amdhsa_next_free_vgpr 18
		.amdhsa_next_free_sgpr 14
		.amdhsa_accum_offset 20
		.amdhsa_reserve_vcc 1
		.amdhsa_reserve_flat_scratch 0
		.amdhsa_float_round_mode_32 0
		.amdhsa_float_round_mode_16_64 0
		.amdhsa_float_denorm_mode_32 3
		.amdhsa_float_denorm_mode_16_64 3
		.amdhsa_dx10_clamp 1
		.amdhsa_ieee_mode 1
		.amdhsa_fp16_overflow 0
		.amdhsa_tg_split 0
		.amdhsa_exception_fp_ieee_invalid_op 0
		.amdhsa_exception_fp_denorm_src 0
		.amdhsa_exception_fp_ieee_div_zero 0
		.amdhsa_exception_fp_ieee_overflow 0
		.amdhsa_exception_fp_ieee_underflow 0
		.amdhsa_exception_fp_ieee_inexact 0
		.amdhsa_exception_int_div_zero 0
	.end_amdhsa_kernel
	.section	.text._Z6kernelI26subtract_left_partial_tileLj256ELj3ELb0EJPxPiS1_jEEvDpT3_,"axG",@progbits,_Z6kernelI26subtract_left_partial_tileLj256ELj3ELb0EJPxPiS1_jEEvDpT3_,comdat
.Lfunc_end139:
	.size	_Z6kernelI26subtract_left_partial_tileLj256ELj3ELb0EJPxPiS1_jEEvDpT3_, .Lfunc_end139-_Z6kernelI26subtract_left_partial_tileLj256ELj3ELb0EJPxPiS1_jEEvDpT3_
                                        ; -- End function
	.section	.AMDGPU.csdata,"",@progbits
; Kernel info:
; codeLenInByte = 588
; NumSgprs: 18
; NumVgprs: 18
; NumAgprs: 0
; TotalNumVgprs: 18
; ScratchSize: 0
; MemoryBound: 0
; FloatMode: 240
; IeeeMode: 1
; LDSByteSize: 4096 bytes/workgroup (compile time only)
; SGPRBlocks: 2
; VGPRBlocks: 2
; NumSGPRsForWavesPerEU: 18
; NumVGPRsForWavesPerEU: 18
; AccumOffset: 20
; Occupancy: 8
; WaveLimiterHint : 1
; COMPUTE_PGM_RSRC2:SCRATCH_EN: 0
; COMPUTE_PGM_RSRC2:USER_SGPR: 6
; COMPUTE_PGM_RSRC2:TRAP_HANDLER: 0
; COMPUTE_PGM_RSRC2:TGID_X_EN: 1
; COMPUTE_PGM_RSRC2:TGID_Y_EN: 0
; COMPUTE_PGM_RSRC2:TGID_Z_EN: 0
; COMPUTE_PGM_RSRC2:TIDIG_COMP_CNT: 0
; COMPUTE_PGM_RSRC3_GFX90A:ACCUM_OFFSET: 4
; COMPUTE_PGM_RSRC3_GFX90A:TG_SPLIT: 0
	.section	.text._Z6kernelI26subtract_left_partial_tileLj256ELj4ELb0EJPxPiS1_jEEvDpT3_,"axG",@progbits,_Z6kernelI26subtract_left_partial_tileLj256ELj4ELb0EJPxPiS1_jEEvDpT3_,comdat
	.protected	_Z6kernelI26subtract_left_partial_tileLj256ELj4ELb0EJPxPiS1_jEEvDpT3_ ; -- Begin function _Z6kernelI26subtract_left_partial_tileLj256ELj4ELb0EJPxPiS1_jEEvDpT3_
	.globl	_Z6kernelI26subtract_left_partial_tileLj256ELj4ELb0EJPxPiS1_jEEvDpT3_
	.p2align	8
	.type	_Z6kernelI26subtract_left_partial_tileLj256ELj4ELb0EJPxPiS1_jEEvDpT3_,@function
_Z6kernelI26subtract_left_partial_tileLj256ELj4ELb0EJPxPiS1_jEEvDpT3_: ; @_Z6kernelI26subtract_left_partial_tileLj256ELj4ELb0EJPxPiS1_jEEvDpT3_
; %bb.0:
	s_load_dwordx4 s[0:3], s[4:5], 0x0
	s_load_dwordx2 s[8:9], s[4:5], 0x10
	s_lshl_b32 s12, s6, 10
	s_mov_b32 s13, 0
	s_lshl_b64 s[10:11], s[12:13], 3
	s_waitcnt lgkmcnt(0)
	s_add_u32 s0, s0, s10
	s_addc_u32 s1, s1, s11
	v_lshlrev_b32_e32 v1, 3, v0
	v_mov_b32_e32 v2, s1
	v_add_co_u32_e32 v6, vcc, s0, v1
	v_addc_co_u32_e32 v7, vcc, 0, v2, vcc
	global_load_dwordx2 v[2:3], v1, s[0:1]
	global_load_dwordx2 v[4:5], v1, s[0:1] offset:2048
	s_movk_i32 s0, 0x1000
	v_add_co_u32_e32 v10, vcc, s0, v6
	v_addc_co_u32_e32 v11, vcc, 0, v7, vcc
	global_load_dwordx2 v[6:7], v[10:11], off
	global_load_dwordx2 v[8:9], v[10:11], off offset:2048
	s_load_dword s12, s[4:5], 0x18
	s_mov_b32 s7, s13
	s_lshl_b64 s[0:1], s[6:7], 2
	s_add_u32 s0, s2, s0
	s_addc_u32 s1, s3, s1
	s_waitcnt lgkmcnt(0)
	v_cvt_f32_u32_e32 v10, s12
	s_load_dword s4, s[0:1], 0x0
	s_sub_i32 s0, 0, s12
	v_lshlrev_b32_e32 v12, 2, v0
	v_rcp_iflag_f32_e32 v10, v10
	v_or_b32_e32 v13, 3, v12
	v_or_b32_e32 v14, 2, v12
	v_or_b32_e32 v15, 1, v12
	v_mul_f32_e32 v10, 0x4f7ffffe, v10
	v_cvt_u32_f32_e32 v10, v10
	v_cmp_ne_u32_e32 vcc, 0, v0
	v_add_u32_e32 v16, -8, v1
	v_readfirstlane_b32 s1, v10
	s_mul_i32 s0, s0, s1
	s_mul_hi_u32 s0, s1, s0
	s_add_i32 s1, s1, s0
	s_lshr_b32 s0, s1, 22
	s_mul_i32 s1, s0, s12
	s_sub_i32 s1, 0x400, s1
	s_add_i32 s2, s0, 1
	s_sub_i32 s3, s1, s12
	s_cmp_ge_u32 s1, s12
	s_cselect_b32 s0, s2, s0
	s_cselect_b32 s1, s3, s1
	s_add_i32 s2, s0, 1
	s_cmp_ge_u32 s1, s12
	s_cselect_b32 s5, s2, s0
	s_add_i32 s5, s5, 1
	s_max_u32 s6, s12, 1
	s_branch .LBB140_2
.LBB140_1:                              ;   in Loop: Header=BB140_2 Depth=1
	s_or_b64 exec, exec, s[2:3]
	v_cmp_gt_u32_e64 s[0:1], s4, v13
	v_cndmask_b32_e64 v18, 0, v6, s[0:1]
	v_cndmask_b32_e64 v17, 0, v7, s[0:1]
	v_sub_co_u32_e64 v18, s[0:1], v8, v18
	v_subb_co_u32_e64 v17, s[0:1], v9, v17, s[0:1]
	v_cmp_gt_u32_e64 s[0:1], s4, v14
	v_cndmask_b32_e64 v20, 0, v4, s[0:1]
	v_cndmask_b32_e64 v19, 0, v5, s[0:1]
	v_sub_co_u32_e64 v20, s[0:1], v6, v20
	v_subb_co_u32_e64 v19, s[0:1], v7, v19, s[0:1]
	v_cmp_gt_u32_e64 s[0:1], s4, v15
	v_cndmask_b32_e64 v22, 0, v2, s[0:1]
	v_cndmask_b32_e64 v21, 0, v3, s[0:1]
	v_sub_co_u32_e64 v22, s[0:1], v4, v22
	v_subb_co_u32_e64 v21, s[0:1], v5, v21, s[0:1]
	v_add_co_u32_e64 v2, s[0:1], v10, v2
	v_addc_co_u32_e64 v3, s[0:1], v11, v3, s[0:1]
	v_add_co_u32_e64 v4, s[0:1], v22, v4
	v_addc_co_u32_e64 v5, s[0:1], v21, v5, s[0:1]
	;; [unrolled: 2-line block ×4, first 2 shown]
	s_add_i32 s0, s5, s4
	s_and_b32 s4, s0, 0x3ff
	s_add_i32 s6, s6, -1
	s_cmp_lg_u32 s6, 0
	s_barrier
	s_cbranch_scc0 .LBB140_4
.LBB140_2:                              ; =>This Inner Loop Header: Depth=1
	s_waitcnt lgkmcnt(0)
	v_cmp_gt_u32_e64 s[0:1], s4, v12
	s_and_b64 s[0:1], vcc, s[0:1]
	s_waitcnt vmcnt(3)
	v_pk_mov_b32 v[10:11], v[2:3], v[2:3] op_sel:[0,1]
	s_waitcnt vmcnt(0)
	ds_write_b64 v1, v[8:9]
	s_waitcnt lgkmcnt(0)
	s_barrier
	s_and_saveexec_b64 s[2:3], s[0:1]
	s_cbranch_execz .LBB140_1
; %bb.3:                                ;   in Loop: Header=BB140_2 Depth=1
	ds_read_b64 v[10:11], v16
	s_waitcnt lgkmcnt(0)
	v_sub_co_u32_e64 v10, s[0:1], v2, v10
	v_subb_co_u32_e64 v11, s[0:1], v3, v11, s[0:1]
	s_branch .LBB140_1
.LBB140_4:
	s_add_u32 s0, s8, s10
	s_addc_u32 s1, s9, s11
	v_lshlrev_b32_e32 v0, 3, v0
	v_mov_b32_e32 v1, s1
	v_add_co_u32_e32 v10, vcc, s0, v0
	v_addc_co_u32_e32 v1, vcc, 0, v1, vcc
	global_store_dwordx2 v0, v[2:3], s[0:1]
	global_store_dwordx2 v0, v[4:5], s[0:1] offset:2048
	v_add_co_u32_e32 v0, vcc, 0x1000, v10
	v_addc_co_u32_e32 v1, vcc, 0, v1, vcc
	global_store_dwordx2 v[0:1], v[6:7], off
	global_store_dwordx2 v[0:1], v[8:9], off offset:2048
	s_endpgm
	.section	.rodata,"a",@progbits
	.p2align	6, 0x0
	.amdhsa_kernel _Z6kernelI26subtract_left_partial_tileLj256ELj4ELb0EJPxPiS1_jEEvDpT3_
		.amdhsa_group_segment_fixed_size 4096
		.amdhsa_private_segment_fixed_size 0
		.amdhsa_kernarg_size 28
		.amdhsa_user_sgpr_count 6
		.amdhsa_user_sgpr_private_segment_buffer 1
		.amdhsa_user_sgpr_dispatch_ptr 0
		.amdhsa_user_sgpr_queue_ptr 0
		.amdhsa_user_sgpr_kernarg_segment_ptr 1
		.amdhsa_user_sgpr_dispatch_id 0
		.amdhsa_user_sgpr_flat_scratch_init 0
		.amdhsa_user_sgpr_kernarg_preload_length 0
		.amdhsa_user_sgpr_kernarg_preload_offset 0
		.amdhsa_user_sgpr_private_segment_size 0
		.amdhsa_uses_dynamic_stack 0
		.amdhsa_system_sgpr_private_segment_wavefront_offset 0
		.amdhsa_system_sgpr_workgroup_id_x 1
		.amdhsa_system_sgpr_workgroup_id_y 0
		.amdhsa_system_sgpr_workgroup_id_z 0
		.amdhsa_system_sgpr_workgroup_info 0
		.amdhsa_system_vgpr_workitem_id 0
		.amdhsa_next_free_vgpr 23
		.amdhsa_next_free_sgpr 14
		.amdhsa_accum_offset 24
		.amdhsa_reserve_vcc 1
		.amdhsa_reserve_flat_scratch 0
		.amdhsa_float_round_mode_32 0
		.amdhsa_float_round_mode_16_64 0
		.amdhsa_float_denorm_mode_32 3
		.amdhsa_float_denorm_mode_16_64 3
		.amdhsa_dx10_clamp 1
		.amdhsa_ieee_mode 1
		.amdhsa_fp16_overflow 0
		.amdhsa_tg_split 0
		.amdhsa_exception_fp_ieee_invalid_op 0
		.amdhsa_exception_fp_denorm_src 0
		.amdhsa_exception_fp_ieee_div_zero 0
		.amdhsa_exception_fp_ieee_overflow 0
		.amdhsa_exception_fp_ieee_underflow 0
		.amdhsa_exception_fp_ieee_inexact 0
		.amdhsa_exception_int_div_zero 0
	.end_amdhsa_kernel
	.section	.text._Z6kernelI26subtract_left_partial_tileLj256ELj4ELb0EJPxPiS1_jEEvDpT3_,"axG",@progbits,_Z6kernelI26subtract_left_partial_tileLj256ELj4ELb0EJPxPiS1_jEEvDpT3_,comdat
.Lfunc_end140:
	.size	_Z6kernelI26subtract_left_partial_tileLj256ELj4ELb0EJPxPiS1_jEEvDpT3_, .Lfunc_end140-_Z6kernelI26subtract_left_partial_tileLj256ELj4ELb0EJPxPiS1_jEEvDpT3_
                                        ; -- End function
	.section	.AMDGPU.csdata,"",@progbits
; Kernel info:
; codeLenInByte = 636
; NumSgprs: 18
; NumVgprs: 23
; NumAgprs: 0
; TotalNumVgprs: 23
; ScratchSize: 0
; MemoryBound: 0
; FloatMode: 240
; IeeeMode: 1
; LDSByteSize: 4096 bytes/workgroup (compile time only)
; SGPRBlocks: 2
; VGPRBlocks: 2
; NumSGPRsForWavesPerEU: 18
; NumVGPRsForWavesPerEU: 23
; AccumOffset: 24
; Occupancy: 8
; WaveLimiterHint : 1
; COMPUTE_PGM_RSRC2:SCRATCH_EN: 0
; COMPUTE_PGM_RSRC2:USER_SGPR: 6
; COMPUTE_PGM_RSRC2:TRAP_HANDLER: 0
; COMPUTE_PGM_RSRC2:TGID_X_EN: 1
; COMPUTE_PGM_RSRC2:TGID_Y_EN: 0
; COMPUTE_PGM_RSRC2:TGID_Z_EN: 0
; COMPUTE_PGM_RSRC2:TIDIG_COMP_CNT: 0
; COMPUTE_PGM_RSRC3_GFX90A:ACCUM_OFFSET: 5
; COMPUTE_PGM_RSRC3_GFX90A:TG_SPLIT: 0
	.section	.text._Z6kernelI26subtract_left_partial_tileLj256ELj8ELb0EJPxPiS1_jEEvDpT3_,"axG",@progbits,_Z6kernelI26subtract_left_partial_tileLj256ELj8ELb0EJPxPiS1_jEEvDpT3_,comdat
	.protected	_Z6kernelI26subtract_left_partial_tileLj256ELj8ELb0EJPxPiS1_jEEvDpT3_ ; -- Begin function _Z6kernelI26subtract_left_partial_tileLj256ELj8ELb0EJPxPiS1_jEEvDpT3_
	.globl	_Z6kernelI26subtract_left_partial_tileLj256ELj8ELb0EJPxPiS1_jEEvDpT3_
	.p2align	8
	.type	_Z6kernelI26subtract_left_partial_tileLj256ELj8ELb0EJPxPiS1_jEEvDpT3_,@function
_Z6kernelI26subtract_left_partial_tileLj256ELj8ELb0EJPxPiS1_jEEvDpT3_: ; @_Z6kernelI26subtract_left_partial_tileLj256ELj8ELb0EJPxPiS1_jEEvDpT3_
; %bb.0:
	s_load_dwordx4 s[0:3], s[4:5], 0x0
	s_load_dwordx2 s[8:9], s[4:5], 0x10
	s_lshl_b32 s12, s6, 11
	s_mov_b32 s13, 0
	s_lshl_b64 s[10:11], s[12:13], 3
	s_waitcnt lgkmcnt(0)
	s_add_u32 s0, s0, s10
	s_addc_u32 s1, s1, s11
	v_lshlrev_b32_e32 v1, 3, v0
	v_mov_b32_e32 v2, s1
	v_add_co_u32_e32 v12, vcc, s0, v1
	v_addc_co_u32_e32 v13, vcc, 0, v2, vcc
	global_load_dwordx2 v[4:5], v1, s[0:1]
	global_load_dwordx2 v[2:3], v1, s[0:1] offset:2048
	s_movk_i32 s0, 0x1000
	v_add_co_u32_e32 v18, vcc, s0, v12
	v_addc_co_u32_e32 v19, vcc, 0, v13, vcc
	s_movk_i32 s0, 0x2000
	v_add_co_u32_e32 v10, vcc, s0, v12
	v_addc_co_u32_e32 v11, vcc, 0, v13, vcc
	s_movk_i32 s0, 0x3000
	v_add_co_u32_e32 v20, vcc, s0, v12
	global_load_dwordx2 v[14:15], v[10:11], off offset:-4096
	global_load_dwordx2 v[8:9], v[10:11], off
	global_load_dwordx2 v[6:7], v[10:11], off offset:2048
	v_addc_co_u32_e32 v21, vcc, 0, v13, vcc
	global_load_dwordx2 v[16:17], v[18:19], off offset:2048
	global_load_dwordx2 v[12:13], v[20:21], off
	global_load_dwordx2 v[10:11], v[20:21], off offset:2048
	s_load_dword s12, s[4:5], 0x18
	s_mov_b32 s7, s13
	s_lshl_b64 s[0:1], s[6:7], 2
	s_add_u32 s0, s2, s0
	s_addc_u32 s1, s3, s1
	s_waitcnt lgkmcnt(0)
	v_cvt_f32_u32_e32 v18, s12
	s_load_dword s4, s[0:1], 0x0
	s_sub_i32 s0, 0, s12
	v_or_b32_e32 v20, 7, v1
	v_rcp_iflag_f32_e32 v18, v18
	v_or_b32_e32 v21, 6, v1
	v_or_b32_e32 v22, 5, v1
	;; [unrolled: 1-line block ×3, first 2 shown]
	v_mul_f32_e32 v18, 0x4f7ffffe, v18
	v_cvt_u32_f32_e32 v18, v18
	v_or_b32_e32 v24, 3, v1
	v_or_b32_e32 v25, 2, v1
	;; [unrolled: 1-line block ×3, first 2 shown]
	v_readfirstlane_b32 s1, v18
	s_mul_i32 s0, s0, s1
	s_mul_hi_u32 s0, s1, s0
	s_add_i32 s1, s1, s0
	s_lshr_b32 s0, s1, 21
	s_mul_i32 s1, s0, s12
	s_sub_i32 s1, 0x800, s1
	s_add_i32 s2, s0, 1
	s_sub_i32 s3, s1, s12
	s_cmp_ge_u32 s1, s12
	s_cselect_b32 s0, s2, s0
	s_cselect_b32 s1, s3, s1
	s_add_i32 s2, s0, 1
	s_cmp_ge_u32 s1, s12
	s_cselect_b32 s5, s2, s0
	s_add_i32 s5, s5, 1
	v_cmp_ne_u32_e32 vcc, 0, v0
	v_add_u32_e32 v27, -8, v1
	s_max_u32 s6, s12, 1
	s_branch .LBB141_2
.LBB141_1:                              ;   in Loop: Header=BB141_2 Depth=1
	s_or_b64 exec, exec, s[2:3]
	v_cmp_gt_u32_e64 s[0:1], s4, v20
	v_cndmask_b32_e64 v29, 0, v12, s[0:1]
	v_cndmask_b32_e64 v28, 0, v13, s[0:1]
	v_sub_co_u32_e64 v29, s[0:1], v10, v29
	v_subb_co_u32_e64 v28, s[0:1], v11, v28, s[0:1]
	v_cmp_gt_u32_e64 s[0:1], s4, v21
	v_cndmask_b32_e64 v31, 0, v6, s[0:1]
	v_cndmask_b32_e64 v30, 0, v7, s[0:1]
	v_sub_co_u32_e64 v31, s[0:1], v12, v31
	v_subb_co_u32_e64 v30, s[0:1], v13, v30, s[0:1]
	;; [unrolled: 5-line block ×7, first 2 shown]
	v_add_co_u32_e64 v4, s[0:1], v18, v4
	v_addc_co_u32_e64 v5, s[0:1], v19, v5, s[0:1]
	v_add_co_u32_e64 v2, s[0:1], v41, v2
	v_addc_co_u32_e64 v3, s[0:1], v40, v3, s[0:1]
	;; [unrolled: 2-line block ×8, first 2 shown]
	s_add_i32 s0, s5, s4
	s_and_b32 s4, s0, 0x7ff
	s_add_i32 s6, s6, -1
	s_cmp_lg_u32 s6, 0
	s_barrier
	s_cbranch_scc0 .LBB141_4
.LBB141_2:                              ; =>This Inner Loop Header: Depth=1
	s_waitcnt lgkmcnt(0)
	v_cmp_gt_u32_e64 s[0:1], s4, v1
	s_and_b64 s[0:1], vcc, s[0:1]
	s_waitcnt vmcnt(7)
	v_pk_mov_b32 v[18:19], v[4:5], v[4:5] op_sel:[0,1]
	s_waitcnt vmcnt(0)
	ds_write_b64 v1, v[10:11]
	s_waitcnt lgkmcnt(0)
	s_barrier
	s_and_saveexec_b64 s[2:3], s[0:1]
	s_cbranch_execz .LBB141_1
; %bb.3:                                ;   in Loop: Header=BB141_2 Depth=1
	ds_read_b64 v[18:19], v27
	s_waitcnt lgkmcnt(0)
	v_sub_co_u32_e64 v18, s[0:1], v4, v18
	v_subb_co_u32_e64 v19, s[0:1], v5, v19, s[0:1]
	s_branch .LBB141_1
.LBB141_4:
	s_add_u32 s0, s8, s10
	s_addc_u32 s1, s9, s11
	v_lshlrev_b32_e32 v0, 3, v0
	v_mov_b32_e32 v1, s1
	v_add_co_u32_e32 v18, vcc, s0, v0
	v_addc_co_u32_e32 v19, vcc, 0, v1, vcc
	global_store_dwordx2 v0, v[4:5], s[0:1]
	global_store_dwordx2 v0, v[2:3], s[0:1] offset:2048
	v_add_co_u32_e32 v0, vcc, 0x1000, v18
	v_addc_co_u32_e32 v1, vcc, 0, v19, vcc
	global_store_dwordx2 v[0:1], v[14:15], off
	global_store_dwordx2 v[0:1], v[16:17], off offset:2048
	v_add_co_u32_e32 v0, vcc, 0x2000, v18
	v_addc_co_u32_e32 v1, vcc, 0, v19, vcc
	global_store_dwordx2 v[0:1], v[8:9], off
	global_store_dwordx2 v[0:1], v[6:7], off offset:2048
	;; [unrolled: 4-line block ×3, first 2 shown]
	s_endpgm
	.section	.rodata,"a",@progbits
	.p2align	6, 0x0
	.amdhsa_kernel _Z6kernelI26subtract_left_partial_tileLj256ELj8ELb0EJPxPiS1_jEEvDpT3_
		.amdhsa_group_segment_fixed_size 4096
		.amdhsa_private_segment_fixed_size 0
		.amdhsa_kernarg_size 28
		.amdhsa_user_sgpr_count 6
		.amdhsa_user_sgpr_private_segment_buffer 1
		.amdhsa_user_sgpr_dispatch_ptr 0
		.amdhsa_user_sgpr_queue_ptr 0
		.amdhsa_user_sgpr_kernarg_segment_ptr 1
		.amdhsa_user_sgpr_dispatch_id 0
		.amdhsa_user_sgpr_flat_scratch_init 0
		.amdhsa_user_sgpr_kernarg_preload_length 0
		.amdhsa_user_sgpr_kernarg_preload_offset 0
		.amdhsa_user_sgpr_private_segment_size 0
		.amdhsa_uses_dynamic_stack 0
		.amdhsa_system_sgpr_private_segment_wavefront_offset 0
		.amdhsa_system_sgpr_workgroup_id_x 1
		.amdhsa_system_sgpr_workgroup_id_y 0
		.amdhsa_system_sgpr_workgroup_id_z 0
		.amdhsa_system_sgpr_workgroup_info 0
		.amdhsa_system_vgpr_workitem_id 0
		.amdhsa_next_free_vgpr 42
		.amdhsa_next_free_sgpr 14
		.amdhsa_accum_offset 44
		.amdhsa_reserve_vcc 1
		.amdhsa_reserve_flat_scratch 0
		.amdhsa_float_round_mode_32 0
		.amdhsa_float_round_mode_16_64 0
		.amdhsa_float_denorm_mode_32 3
		.amdhsa_float_denorm_mode_16_64 3
		.amdhsa_dx10_clamp 1
		.amdhsa_ieee_mode 1
		.amdhsa_fp16_overflow 0
		.amdhsa_tg_split 0
		.amdhsa_exception_fp_ieee_invalid_op 0
		.amdhsa_exception_fp_denorm_src 0
		.amdhsa_exception_fp_ieee_div_zero 0
		.amdhsa_exception_fp_ieee_overflow 0
		.amdhsa_exception_fp_ieee_underflow 0
		.amdhsa_exception_fp_ieee_inexact 0
		.amdhsa_exception_int_div_zero 0
	.end_amdhsa_kernel
	.section	.text._Z6kernelI26subtract_left_partial_tileLj256ELj8ELb0EJPxPiS1_jEEvDpT3_,"axG",@progbits,_Z6kernelI26subtract_left_partial_tileLj256ELj8ELb0EJPxPiS1_jEEvDpT3_,comdat
.Lfunc_end141:
	.size	_Z6kernelI26subtract_left_partial_tileLj256ELj8ELb0EJPxPiS1_jEEvDpT3_, .Lfunc_end141-_Z6kernelI26subtract_left_partial_tileLj256ELj8ELb0EJPxPiS1_jEEvDpT3_
                                        ; -- End function
	.section	.AMDGPU.csdata,"",@progbits
; Kernel info:
; codeLenInByte = 984
; NumSgprs: 18
; NumVgprs: 42
; NumAgprs: 0
; TotalNumVgprs: 42
; ScratchSize: 0
; MemoryBound: 0
; FloatMode: 240
; IeeeMode: 1
; LDSByteSize: 4096 bytes/workgroup (compile time only)
; SGPRBlocks: 2
; VGPRBlocks: 5
; NumSGPRsForWavesPerEU: 18
; NumVGPRsForWavesPerEU: 42
; AccumOffset: 44
; Occupancy: 8
; WaveLimiterHint : 1
; COMPUTE_PGM_RSRC2:SCRATCH_EN: 0
; COMPUTE_PGM_RSRC2:USER_SGPR: 6
; COMPUTE_PGM_RSRC2:TRAP_HANDLER: 0
; COMPUTE_PGM_RSRC2:TGID_X_EN: 1
; COMPUTE_PGM_RSRC2:TGID_Y_EN: 0
; COMPUTE_PGM_RSRC2:TGID_Z_EN: 0
; COMPUTE_PGM_RSRC2:TIDIG_COMP_CNT: 0
; COMPUTE_PGM_RSRC3_GFX90A:ACCUM_OFFSET: 10
; COMPUTE_PGM_RSRC3_GFX90A:TG_SPLIT: 0
	.section	.text._Z6kernelI26subtract_left_partial_tileLj256ELj16ELb0EJPxPiS1_jEEvDpT3_,"axG",@progbits,_Z6kernelI26subtract_left_partial_tileLj256ELj16ELb0EJPxPiS1_jEEvDpT3_,comdat
	.protected	_Z6kernelI26subtract_left_partial_tileLj256ELj16ELb0EJPxPiS1_jEEvDpT3_ ; -- Begin function _Z6kernelI26subtract_left_partial_tileLj256ELj16ELb0EJPxPiS1_jEEvDpT3_
	.globl	_Z6kernelI26subtract_left_partial_tileLj256ELj16ELb0EJPxPiS1_jEEvDpT3_
	.p2align	8
	.type	_Z6kernelI26subtract_left_partial_tileLj256ELj16ELb0EJPxPiS1_jEEvDpT3_,@function
_Z6kernelI26subtract_left_partial_tileLj256ELj16ELb0EJPxPiS1_jEEvDpT3_: ; @_Z6kernelI26subtract_left_partial_tileLj256ELj16ELb0EJPxPiS1_jEEvDpT3_
; %bb.0:
	s_load_dwordx4 s[0:3], s[4:5], 0x0
	s_load_dwordx2 s[14:15], s[4:5], 0x10
	s_lshl_b32 s8, s6, 12
	s_mov_b32 s9, 0
	s_lshl_b64 s[16:17], s[8:9], 3
	s_waitcnt lgkmcnt(0)
	s_add_u32 s0, s0, s16
	s_addc_u32 s1, s1, s17
	v_lshlrev_b32_e32 v1, 3, v0
	v_mov_b32_e32 v2, s1
	v_add_co_u32_e32 v28, vcc, s0, v1
	v_addc_co_u32_e32 v29, vcc, 0, v2, vcc
	global_load_dwordx2 v[4:5], v1, s[0:1]
	global_load_dwordx2 v[2:3], v1, s[0:1] offset:2048
	s_movk_i32 s0, 0x1000
	v_add_co_u32_e32 v34, vcc, s0, v28
	v_addc_co_u32_e32 v35, vcc, 0, v29, vcc
	s_movk_i32 s0, 0x2000
	v_add_co_u32_e32 v6, vcc, s0, v28
	v_addc_co_u32_e32 v7, vcc, 0, v29, vcc
	;; [unrolled: 3-line block ×6, first 2 shown]
	s_movk_i32 s0, 0x7000
	v_add_co_u32_e32 v40, vcc, s0, v28
	global_load_dwordx2 v[26:27], v[6:7], off offset:-4096
	global_load_dwordx2 v[20:21], v[6:7], off
	global_load_dwordx2 v[18:19], v[6:7], off offset:2048
	global_load_dwordx2 v[10:11], v[12:13], off offset:-4096
	global_load_dwordx2 v[24:25], v[12:13], off
	global_load_dwordx2 v[22:23], v[12:13], off offset:2048
	;; [unrolled: 3-line block ×3, first 2 shown]
	v_addc_co_u32_e32 v41, vcc, 0, v29, vcc
	global_load_dwordx2 v[32:33], v[34:35], off offset:2048
	global_load_dwordx2 v[30:31], v[36:37], off offset:2048
	;; [unrolled: 1-line block ×3, first 2 shown]
	global_load_dwordx2 v[14:15], v[40:41], off
	global_load_dwordx2 v[12:13], v[40:41], off offset:2048
	s_load_dword s4, s[4:5], 0x18
	s_mov_b32 s7, s9
	s_lshl_b64 s[0:1], s[6:7], 2
	s_add_u32 s0, s2, s0
	s_addc_u32 s1, s3, s1
	s_waitcnt lgkmcnt(0)
	v_cvt_f32_u32_e32 v34, s4
	s_load_dword s18, s[0:1], 0x0
	s_sub_i32 s0, 0, s4
	v_lshlrev_b32_e32 v36, 4, v0
	v_rcp_iflag_f32_e32 v34, v34
	v_or_b32_e32 v37, 15, v36
	v_or_b32_e32 v38, 14, v36
	;; [unrolled: 1-line block ×3, first 2 shown]
	v_mul_f32_e32 v34, 0x4f7ffffe, v34
	v_cvt_u32_f32_e32 v34, v34
	v_or_b32_e32 v40, 12, v36
	v_or_b32_e32 v41, 11, v36
	;; [unrolled: 1-line block ×3, first 2 shown]
	v_readfirstlane_b32 s1, v34
	s_mul_i32 s0, s0, s1
	s_mul_hi_u32 s0, s1, s0
	s_add_i32 s1, s1, s0
	s_lshr_b32 s0, s1, 20
	s_mul_i32 s1, s0, s4
	s_sub_i32 s1, 0x1000, s1
	s_add_i32 s2, s0, 1
	s_sub_i32 s3, s1, s4
	s_cmp_ge_u32 s1, s4
	s_cselect_b32 s0, s2, s0
	s_cselect_b32 s1, s3, s1
	s_add_i32 s2, s0, 1
	s_cmp_ge_u32 s1, s4
	s_cselect_b32 s19, s2, s0
	s_add_i32 s19, s19, 1
	v_or_b32_e32 v43, 9, v36
	v_or_b32_e32 v44, 8, v36
	;; [unrolled: 1-line block ×9, first 2 shown]
	v_cmp_ne_u32_e32 vcc, 0, v0
	v_add_u32_e32 v52, -8, v1
	s_max_u32 s20, s4, 1
	s_branch .LBB142_2
.LBB142_1:                              ;   in Loop: Header=BB142_2 Depth=1
	s_or_b64 exec, exec, s[2:3]
	v_cmp_gt_u32_e64 s[2:3], s18, v51
	v_cndmask_b32_e64 v56, 0, v4, s[2:3]
	v_cndmask_b32_e64 v55, 0, v5, s[2:3]
	v_add_co_u32_e64 v4, s[2:3], v34, v4
	v_cmp_gt_u32_e64 s[8:9], s18, v50
	v_sub_co_u32_e64 v56, s[10:11], v2, v56
	v_addc_co_u32_e64 v5, s[2:3], v35, v5, s[2:3]
	v_cndmask_b32_e64 v35, 0, v2, s[8:9]
	v_add_co_u32_e64 v2, s[12:13], v56, v2
	v_cndmask_b32_e64 v56, 0, v3, s[8:9]
	v_subb_co_u32_e64 v55, s[8:9], v3, v55, s[10:11]
	v_addc_co_u32_e64 v3, s[10:11], v55, v3, s[12:13]
	v_cmp_gt_u32_e64 s[8:9], s18, v49
	v_sub_co_u32_e64 v35, s[10:11], v26, v35
	v_cndmask_b32_e64 v55, 0, v26, s[8:9]
	v_add_co_u32_e64 v26, s[12:13], v35, v26
	v_cndmask_b32_e64 v35, 0, v27, s[8:9]
	v_subb_co_u32_e64 v56, s[8:9], v27, v56, s[10:11]
	v_addc_co_u32_e64 v27, s[10:11], v56, v27, s[12:13]
	v_cmp_gt_u32_e64 s[8:9], s18, v48
	v_sub_co_u32_e64 v55, s[10:11], v32, v55
	;; [unrolled: 7-line block ×9, first 2 shown]
	v_cndmask_b32_e64 v35, 0, v16, s[6:7]
	v_add_co_u32_e64 v16, s[10:11], v56, v16
	v_cndmask_b32_e64 v56, 0, v17, s[6:7]
	v_subb_co_u32_e64 v55, s[6:7], v17, v55, s[8:9]
	v_addc_co_u32_e64 v17, s[6:7], v55, v17, s[10:11]
	v_cmp_gt_u32_e64 s[0:1], s18, v37
	v_cmp_gt_u32_e64 s[4:5], s18, v40
	v_sub_co_u32_e64 v35, s[6:7], v28, v35
	v_cndmask_b32_e64 v54, 0, v14, s[0:1]
	v_cndmask_b32_e64 v55, 0, v28, s[4:5]
	v_add_co_u32_e64 v28, s[8:9], v35, v28
	v_cndmask_b32_e64 v35, 0, v29, s[4:5]
	v_subb_co_u32_e64 v56, s[4:5], v29, v56, s[6:7]
	v_cndmask_b32_e64 v53, 0, v15, s[0:1]
	v_sub_co_u32_e64 v54, s[0:1], v12, v54
	v_addc_co_u32_e64 v29, s[4:5], v56, v29, s[8:9]
	v_subb_co_u32_e64 v53, s[0:1], v13, v53, s[0:1]
	v_cmp_gt_u32_e64 s[2:3], s18, v39
	v_sub_co_u32_e64 v55, s[4:5], v8, v55
	v_cmp_gt_u32_e64 s[0:1], s18, v38
	v_cndmask_b32_e64 v56, 0, v8, s[2:3]
	v_add_co_u32_e64 v8, s[6:7], v55, v8
	v_cndmask_b32_e64 v55, 0, v9, s[2:3]
	v_subb_co_u32_e64 v35, s[2:3], v9, v35, s[4:5]
	v_addc_co_u32_e64 v9, s[2:3], v35, v9, s[6:7]
	v_cndmask_b32_e64 v35, 0, v6, s[0:1]
	v_cndmask_b32_e64 v34, 0, v7, s[0:1]
	v_sub_co_u32_e64 v35, s[0:1], v14, v35
	v_subb_co_u32_e64 v34, s[0:1], v15, v34, s[0:1]
	v_sub_co_u32_e64 v56, s[0:1], v6, v56
	v_subb_co_u32_e64 v55, s[0:1], v7, v55, s[0:1]
	v_add_co_u32_e64 v6, s[0:1], v56, v6
	v_addc_co_u32_e64 v7, s[0:1], v55, v7, s[0:1]
	v_add_co_u32_e64 v14, s[0:1], v35, v14
	v_addc_co_u32_e64 v15, s[0:1], v34, v15, s[0:1]
	;; [unrolled: 2-line block ×3, first 2 shown]
	s_add_i32 s0, s19, s18
	s_and_b32 s18, s0, 0xfff
	s_add_i32 s20, s20, -1
	s_cmp_lg_u32 s20, 0
	s_barrier
	s_cbranch_scc0 .LBB142_4
.LBB142_2:                              ; =>This Inner Loop Header: Depth=1
	s_waitcnt lgkmcnt(0)
	v_cmp_gt_u32_e64 s[0:1], s18, v36
	s_and_b64 s[0:1], vcc, s[0:1]
	s_waitcnt vmcnt(15)
	v_pk_mov_b32 v[34:35], v[4:5], v[4:5] op_sel:[0,1]
	s_waitcnt vmcnt(0)
	ds_write_b64 v1, v[12:13]
	s_waitcnt lgkmcnt(0)
	s_barrier
	s_and_saveexec_b64 s[2:3], s[0:1]
	s_cbranch_execz .LBB142_1
; %bb.3:                                ;   in Loop: Header=BB142_2 Depth=1
	ds_read_b64 v[34:35], v52
	s_waitcnt lgkmcnt(0)
	v_sub_co_u32_e64 v34, s[0:1], v4, v34
	v_subb_co_u32_e64 v35, s[0:1], v5, v35, s[0:1]
	s_branch .LBB142_1
.LBB142_4:
	s_add_u32 s0, s14, s16
	s_addc_u32 s1, s15, s17
	v_lshlrev_b32_e32 v0, 3, v0
	v_mov_b32_e32 v1, s1
	v_add_co_u32_e32 v34, vcc, s0, v0
	v_addc_co_u32_e32 v35, vcc, 0, v1, vcc
	global_store_dwordx2 v0, v[4:5], s[0:1]
	global_store_dwordx2 v0, v[2:3], s[0:1] offset:2048
	v_add_co_u32_e32 v0, vcc, 0x1000, v34
	v_addc_co_u32_e32 v1, vcc, 0, v35, vcc
	global_store_dwordx2 v[0:1], v[26:27], off
	global_store_dwordx2 v[0:1], v[32:33], off offset:2048
	v_add_co_u32_e32 v0, vcc, 0x2000, v34
	v_addc_co_u32_e32 v1, vcc, 0, v35, vcc
	global_store_dwordx2 v[0:1], v[20:21], off
	global_store_dwordx2 v[0:1], v[18:19], off offset:2048
	;; [unrolled: 4-line block ×7, first 2 shown]
	s_endpgm
	.section	.rodata,"a",@progbits
	.p2align	6, 0x0
	.amdhsa_kernel _Z6kernelI26subtract_left_partial_tileLj256ELj16ELb0EJPxPiS1_jEEvDpT3_
		.amdhsa_group_segment_fixed_size 4096
		.amdhsa_private_segment_fixed_size 0
		.amdhsa_kernarg_size 28
		.amdhsa_user_sgpr_count 6
		.amdhsa_user_sgpr_private_segment_buffer 1
		.amdhsa_user_sgpr_dispatch_ptr 0
		.amdhsa_user_sgpr_queue_ptr 0
		.amdhsa_user_sgpr_kernarg_segment_ptr 1
		.amdhsa_user_sgpr_dispatch_id 0
		.amdhsa_user_sgpr_flat_scratch_init 0
		.amdhsa_user_sgpr_kernarg_preload_length 0
		.amdhsa_user_sgpr_kernarg_preload_offset 0
		.amdhsa_user_sgpr_private_segment_size 0
		.amdhsa_uses_dynamic_stack 0
		.amdhsa_system_sgpr_private_segment_wavefront_offset 0
		.amdhsa_system_sgpr_workgroup_id_x 1
		.amdhsa_system_sgpr_workgroup_id_y 0
		.amdhsa_system_sgpr_workgroup_id_z 0
		.amdhsa_system_sgpr_workgroup_info 0
		.amdhsa_system_vgpr_workitem_id 0
		.amdhsa_next_free_vgpr 57
		.amdhsa_next_free_sgpr 21
		.amdhsa_accum_offset 60
		.amdhsa_reserve_vcc 1
		.amdhsa_reserve_flat_scratch 0
		.amdhsa_float_round_mode_32 0
		.amdhsa_float_round_mode_16_64 0
		.amdhsa_float_denorm_mode_32 3
		.amdhsa_float_denorm_mode_16_64 3
		.amdhsa_dx10_clamp 1
		.amdhsa_ieee_mode 1
		.amdhsa_fp16_overflow 0
		.amdhsa_tg_split 0
		.amdhsa_exception_fp_ieee_invalid_op 0
		.amdhsa_exception_fp_denorm_src 0
		.amdhsa_exception_fp_ieee_div_zero 0
		.amdhsa_exception_fp_ieee_overflow 0
		.amdhsa_exception_fp_ieee_underflow 0
		.amdhsa_exception_fp_ieee_inexact 0
		.amdhsa_exception_int_div_zero 0
	.end_amdhsa_kernel
	.section	.text._Z6kernelI26subtract_left_partial_tileLj256ELj16ELb0EJPxPiS1_jEEvDpT3_,"axG",@progbits,_Z6kernelI26subtract_left_partial_tileLj256ELj16ELb0EJPxPiS1_jEEvDpT3_,comdat
.Lfunc_end142:
	.size	_Z6kernelI26subtract_left_partial_tileLj256ELj16ELb0EJPxPiS1_jEEvDpT3_, .Lfunc_end142-_Z6kernelI26subtract_left_partial_tileLj256ELj16ELb0EJPxPiS1_jEEvDpT3_
                                        ; -- End function
	.section	.AMDGPU.csdata,"",@progbits
; Kernel info:
; codeLenInByte = 1692
; NumSgprs: 25
; NumVgprs: 57
; NumAgprs: 0
; TotalNumVgprs: 57
; ScratchSize: 0
; MemoryBound: 0
; FloatMode: 240
; IeeeMode: 1
; LDSByteSize: 4096 bytes/workgroup (compile time only)
; SGPRBlocks: 3
; VGPRBlocks: 7
; NumSGPRsForWavesPerEU: 25
; NumVGPRsForWavesPerEU: 57
; AccumOffset: 60
; Occupancy: 8
; WaveLimiterHint : 1
; COMPUTE_PGM_RSRC2:SCRATCH_EN: 0
; COMPUTE_PGM_RSRC2:USER_SGPR: 6
; COMPUTE_PGM_RSRC2:TRAP_HANDLER: 0
; COMPUTE_PGM_RSRC2:TGID_X_EN: 1
; COMPUTE_PGM_RSRC2:TGID_Y_EN: 0
; COMPUTE_PGM_RSRC2:TGID_Z_EN: 0
; COMPUTE_PGM_RSRC2:TIDIG_COMP_CNT: 0
; COMPUTE_PGM_RSRC3_GFX90A:ACCUM_OFFSET: 14
; COMPUTE_PGM_RSRC3_GFX90A:TG_SPLIT: 0
	.section	.text._Z6kernelI26subtract_left_partial_tileLj256ELj32ELb0EJPxPiS1_jEEvDpT3_,"axG",@progbits,_Z6kernelI26subtract_left_partial_tileLj256ELj32ELb0EJPxPiS1_jEEvDpT3_,comdat
	.protected	_Z6kernelI26subtract_left_partial_tileLj256ELj32ELb0EJPxPiS1_jEEvDpT3_ ; -- Begin function _Z6kernelI26subtract_left_partial_tileLj256ELj32ELb0EJPxPiS1_jEEvDpT3_
	.globl	_Z6kernelI26subtract_left_partial_tileLj256ELj32ELb0EJPxPiS1_jEEvDpT3_
	.p2align	8
	.type	_Z6kernelI26subtract_left_partial_tileLj256ELj32ELb0EJPxPiS1_jEEvDpT3_,@function
_Z6kernelI26subtract_left_partial_tileLj256ELj32ELb0EJPxPiS1_jEEvDpT3_: ; @_Z6kernelI26subtract_left_partial_tileLj256ELj32ELb0EJPxPiS1_jEEvDpT3_
; %bb.0:
	s_load_dwordx4 s[0:3], s[4:5], 0x0
	s_load_dwordx2 s[8:9], s[4:5], 0x10
	s_lshl_b32 s12, s6, 13
	s_mov_b32 s13, 0
	s_lshl_b64 s[10:11], s[12:13], 3
	s_waitcnt lgkmcnt(0)
	s_add_u32 s0, s0, s10
	s_addc_u32 s1, s1, s11
	v_lshlrev_b32_e32 v1, 3, v0
	v_mov_b32_e32 v2, s1
	v_add_co_u32_e32 v46, vcc, s0, v1
	v_addc_co_u32_e32 v47, vcc, 0, v2, vcc
	s_movk_i32 s7, 0x1000
	v_add_co_u32_e32 v30, vcc, s7, v46
	v_addc_co_u32_e32 v31, vcc, 0, v47, vcc
	s_movk_i32 s7, 0x2000
	;; [unrolled: 3-line block ×7, first 2 shown]
	v_add_co_u32_e32 v42, vcc, s7, v46
	v_addc_co_u32_e32 v43, vcc, 0, v47, vcc
	s_mov_b32 s7, 0x8000
	v_add_co_u32_e32 v44, vcc, s7, v46
	v_addc_co_u32_e32 v45, vcc, 0, v47, vcc
	s_mov_b32 s7, 0x9000
	;; [unrolled: 3-line block ×3, first 2 shown]
	global_load_dwordx2 v[22:23], v[2:3], off offset:-4096
	global_load_dwordx2 v[10:11], v[2:3], off
	global_load_dwordx2 v[8:9], v[2:3], off offset:2048
	global_load_dwordx2 v[4:5], v[12:13], off offset:-4096
	global_load_dwordx2 v[18:19], v[12:13], off
	global_load_dwordx2 v[16:17], v[12:13], off offset:2048
	global_load_dwordx2 v[6:7], v[36:37], off offset:-4096
	s_nop 0
	global_load_dwordx2 v[2:3], v[36:37], off
	global_load_dwordx2 v[40:41], v[30:31], off offset:2048
	global_load_dwordx2 v[38:39], v[32:33], off offset:2048
	;; [unrolled: 1-line block ×5, first 2 shown]
	global_load_dwordx2 v[24:25], v[44:45], off offset:-4096
	global_load_dwordx2 v[14:15], v[44:45], off
	global_load_dwordx2 v[12:13], v[44:45], off offset:2048
	v_add_co_u32_e32 v42, vcc, s7, v46
	v_addc_co_u32_e32 v43, vcc, 0, v47, vcc
	s_mov_b32 s7, 0xb000
	v_add_co_u32_e32 v68, vcc, s7, v46
	v_addc_co_u32_e32 v69, vcc, 0, v47, vcc
	s_mov_b32 s7, 0xc000
	v_add_co_u32_e32 v70, vcc, s7, v46
	v_addc_co_u32_e32 v71, vcc, 0, v47, vcc
	s_mov_b32 s7, 0xd000
	v_add_co_u32_e32 v72, vcc, s7, v46
	v_addc_co_u32_e32 v73, vcc, 0, v47, vcc
	s_mov_b32 s7, 0xe000
	v_add_co_u32_e32 v74, vcc, s7, v46
	v_addc_co_u32_e32 v75, vcc, 0, v47, vcc
	s_mov_b32 s7, 0xf000
	v_add_co_u32_e32 v76, vcc, s7, v46
	global_load_dwordx2 v[36:37], v[42:43], off offset:-4096
	global_load_dwordx2 v[34:35], v[42:43], off
	global_load_dwordx2 v[32:33], v[42:43], off offset:2048
	global_load_dwordx2 v[30:31], v[70:71], off offset:-4096
	v_addc_co_u32_e32 v77, vcc, 0, v47, vcc
	global_load_dwordx2 v[56:57], v[70:71], off
	global_load_dwordx2 v[54:55], v[70:71], off offset:2048
	global_load_dwordx2 v[50:51], v[74:75], off offset:-4096
	global_load_dwordx2 v[48:49], v[74:75], off
	global_load_dwordx2 v[46:47], v[74:75], off offset:2048
	global_load_dwordx2 v[60:61], v[66:67], off offset:2048
	;; [unrolled: 1-line block ×4, first 2 shown]
	global_load_dwordx2 v[44:45], v[76:77], off
	global_load_dwordx2 v[42:43], v[76:77], off offset:2048
	global_load_dwordx2 v[64:65], v1, s[0:1]
	global_load_dwordx2 v[62:63], v1, s[0:1] offset:2048
	s_load_dword s12, s[4:5], 0x18
	s_mov_b32 s7, s13
	s_lshl_b64 s[0:1], s[6:7], 2
	s_add_u32 s0, s2, s0
	s_addc_u32 s1, s3, s1
	s_waitcnt lgkmcnt(0)
	v_cvt_f32_u32_e32 v66, s12
	s_load_dword s4, s[0:1], 0x0
	s_sub_i32 s0, 0, s12
	v_lshlrev_b32_e32 v68, 5, v0
	v_rcp_iflag_f32_e32 v66, v66
	v_cmp_ne_u32_e32 vcc, 0, v0
	v_or_b32_e32 v69, 31, v68
	v_or_b32_e32 v70, 30, v68
	v_mul_f32_e32 v66, 0x4f7ffffe, v66
	v_cvt_u32_f32_e32 v66, v66
	v_or_b32_e32 v71, 29, v68
	v_or_b32_e32 v72, 28, v68
	;; [unrolled: 1-line block ×3, first 2 shown]
	v_readfirstlane_b32 s5, v66
	s_mul_i32 s0, s0, s5
	s_mul_hi_u32 s0, s5, s0
	s_add_i32 s5, s5, s0
	s_lshr_b32 s0, s5, 19
	s_mul_i32 s1, s0, s12
	s_sub_i32 s1, 0x2000, s1
	s_add_i32 s2, s0, 1
	s_sub_i32 s3, s1, s12
	s_cmp_ge_u32 s1, s12
	s_cselect_b32 s0, s2, s0
	s_cselect_b32 s1, s3, s1
	s_add_i32 s2, s0, 1
	s_cmp_ge_u32 s1, s12
	s_cselect_b32 s5, s2, s0
	s_add_i32 s5, s5, 1
	s_max_u32 s6, s12, 1
	v_or_b32_e32 v74, 26, v68
	v_or_b32_e32 v75, 25, v68
	;; [unrolled: 1-line block ×26, first 2 shown]
	v_add_u32_e32 v100, -8, v1
	s_branch .LBB143_2
.LBB143_1:                              ;   in Loop: Header=BB143_2 Depth=1
	s_or_b64 exec, exec, s[2:3]
	v_cmp_gt_u32_e64 s[0:1], s4, v69
	v_cndmask_b32_e64 v102, 0, v44, s[0:1]
	v_cndmask_b32_e64 v101, 0, v45, s[0:1]
	v_sub_co_u32_e64 v102, s[0:1], v42, v102
	v_subb_co_u32_e64 v101, s[0:1], v43, v101, s[0:1]
	v_cmp_gt_u32_e64 s[0:1], s4, v70
	v_cndmask_b32_e64 v104, 0, v46, s[0:1]
	v_cndmask_b32_e64 v103, 0, v47, s[0:1]
	v_sub_co_u32_e64 v104, s[0:1], v44, v104
	v_subb_co_u32_e64 v103, s[0:1], v45, v103, s[0:1]
	;; [unrolled: 5-line block ×9, first 2 shown]
	v_cmp_gt_u32_e64 s[0:1], s4, v99
	v_cndmask_b32_e64 v119, 0, v65, s[0:1]
	v_cndmask_b32_e64 v120, 0, v64, s[0:1]
	v_add_co_u32_e64 v64, s[0:1], v66, v64
	v_cmp_gt_u32_e64 s[2:3], s4, v98
	v_addc_co_u32_e64 v65, s[0:1], v67, v65, s[0:1]
	s_waitcnt vmcnt(0)
	v_cndmask_b32_e64 v67, 0, v62, s[2:3]
	v_cndmask_b32_e64 v121, 0, v63, s[2:3]
	v_sub_co_u32_e64 v120, s[2:3], v62, v120
	v_subb_co_u32_e64 v119, s[2:3], v63, v119, s[2:3]
	v_add_co_u32_e64 v62, s[2:3], v120, v62
	v_addc_co_u32_e64 v63, s[2:3], v119, v63, s[2:3]
	v_cmp_gt_u32_e64 s[2:3], s4, v97
	v_cndmask_b32_e64 v119, 0, v22, s[2:3]
	v_cndmask_b32_e64 v120, 0, v23, s[2:3]
	v_sub_co_u32_e64 v67, s[2:3], v22, v67
	v_subb_co_u32_e64 v121, s[2:3], v23, v121, s[2:3]
	v_add_co_u32_e64 v22, s[2:3], v67, v22
	v_addc_co_u32_e64 v23, s[2:3], v121, v23, s[2:3]
	v_cmp_gt_u32_e64 s[2:3], s4, v96
	;; [unrolled: 7-line block ×19, first 2 shown]
	v_cndmask_b32_e64 v119, 0, v34, s[2:3]
	v_cndmask_b32_e64 v120, 0, v35, s[2:3]
	v_sub_co_u32_e64 v67, s[2:3], v34, v67
	v_cmp_gt_u32_e64 s[0:1], s4, v78
	v_subb_co_u32_e64 v121, s[2:3], v35, v121, s[2:3]
	v_add_co_u32_e64 v34, s[2:3], v67, v34
	v_cndmask_b32_e64 v67, 0, v32, s[0:1]
	v_cndmask_b32_e64 v66, 0, v33, s[0:1]
	v_sub_co_u32_e64 v67, s[0:1], v30, v67
	v_subb_co_u32_e64 v66, s[0:1], v31, v66, s[0:1]
	v_sub_co_u32_e64 v119, s[0:1], v32, v119
	v_subb_co_u32_e64 v120, s[0:1], v33, v120, s[0:1]
	v_add_co_u32_e64 v32, s[0:1], v119, v32
	v_addc_co_u32_e64 v33, s[0:1], v120, v33, s[0:1]
	v_add_co_u32_e64 v30, s[0:1], v67, v30
	v_addc_co_u32_e64 v31, s[0:1], v66, v31, s[0:1]
	;; [unrolled: 2-line block ×11, first 2 shown]
	s_add_i32 s0, s5, s4
	s_and_b32 s4, s0, 0x1fff
	s_add_i32 s6, s6, -1
	v_addc_co_u32_e64 v35, s[2:3], v121, v35, s[2:3]
	s_cmp_lg_u32 s6, 0
	s_barrier
	s_cbranch_scc0 .LBB143_4
.LBB143_2:                              ; =>This Inner Loop Header: Depth=1
	s_waitcnt lgkmcnt(0)
	v_cmp_gt_u32_e64 s[0:1], s4, v68
	s_and_b64 s[0:1], vcc, s[0:1]
	s_waitcnt vmcnt(1)
	v_pk_mov_b32 v[66:67], v[64:65], v[64:65] op_sel:[0,1]
	ds_write_b64 v1, v[42:43]
	s_waitcnt lgkmcnt(0)
	s_barrier
	s_and_saveexec_b64 s[2:3], s[0:1]
	s_cbranch_execz .LBB143_1
; %bb.3:                                ;   in Loop: Header=BB143_2 Depth=1
	ds_read_b64 v[66:67], v100
	s_waitcnt lgkmcnt(0)
	v_sub_co_u32_e64 v66, s[0:1], v64, v66
	v_subb_co_u32_e64 v67, s[0:1], v65, v67, s[0:1]
	s_branch .LBB143_1
.LBB143_4:
	s_add_u32 s0, s8, s10
	s_addc_u32 s1, s9, s11
	v_lshlrev_b32_e32 v0, 3, v0
	v_mov_b32_e32 v1, s1
	v_add_co_u32_e32 v66, vcc, s0, v0
	v_addc_co_u32_e32 v67, vcc, 0, v1, vcc
	global_store_dwordx2 v0, v[64:65], s[0:1]
	global_store_dwordx2 v0, v[62:63], s[0:1] offset:2048
	v_add_co_u32_e32 v0, vcc, 0x1000, v66
	v_addc_co_u32_e32 v1, vcc, 0, v67, vcc
	global_store_dwordx2 v[0:1], v[22:23], off
	global_store_dwordx2 v[0:1], v[40:41], off offset:2048
	v_add_co_u32_e32 v0, vcc, 0x2000, v66
	v_addc_co_u32_e32 v1, vcc, 0, v67, vcc
	global_store_dwordx2 v[0:1], v[10:11], off
	global_store_dwordx2 v[0:1], v[8:9], off offset:2048
	;; [unrolled: 4-line block ×15, first 2 shown]
	s_endpgm
	.section	.rodata,"a",@progbits
	.p2align	6, 0x0
	.amdhsa_kernel _Z6kernelI26subtract_left_partial_tileLj256ELj32ELb0EJPxPiS1_jEEvDpT3_
		.amdhsa_group_segment_fixed_size 4096
		.amdhsa_private_segment_fixed_size 0
		.amdhsa_kernarg_size 28
		.amdhsa_user_sgpr_count 6
		.amdhsa_user_sgpr_private_segment_buffer 1
		.amdhsa_user_sgpr_dispatch_ptr 0
		.amdhsa_user_sgpr_queue_ptr 0
		.amdhsa_user_sgpr_kernarg_segment_ptr 1
		.amdhsa_user_sgpr_dispatch_id 0
		.amdhsa_user_sgpr_flat_scratch_init 0
		.amdhsa_user_sgpr_kernarg_preload_length 0
		.amdhsa_user_sgpr_kernarg_preload_offset 0
		.amdhsa_user_sgpr_private_segment_size 0
		.amdhsa_uses_dynamic_stack 0
		.amdhsa_system_sgpr_private_segment_wavefront_offset 0
		.amdhsa_system_sgpr_workgroup_id_x 1
		.amdhsa_system_sgpr_workgroup_id_y 0
		.amdhsa_system_sgpr_workgroup_id_z 0
		.amdhsa_system_sgpr_workgroup_info 0
		.amdhsa_system_vgpr_workitem_id 0
		.amdhsa_next_free_vgpr 122
		.amdhsa_next_free_sgpr 14
		.amdhsa_accum_offset 124
		.amdhsa_reserve_vcc 1
		.amdhsa_reserve_flat_scratch 0
		.amdhsa_float_round_mode_32 0
		.amdhsa_float_round_mode_16_64 0
		.amdhsa_float_denorm_mode_32 3
		.amdhsa_float_denorm_mode_16_64 3
		.amdhsa_dx10_clamp 1
		.amdhsa_ieee_mode 1
		.amdhsa_fp16_overflow 0
		.amdhsa_tg_split 0
		.amdhsa_exception_fp_ieee_invalid_op 0
		.amdhsa_exception_fp_denorm_src 0
		.amdhsa_exception_fp_ieee_div_zero 0
		.amdhsa_exception_fp_ieee_overflow 0
		.amdhsa_exception_fp_ieee_underflow 0
		.amdhsa_exception_fp_ieee_inexact 0
		.amdhsa_exception_int_div_zero 0
	.end_amdhsa_kernel
	.section	.text._Z6kernelI26subtract_left_partial_tileLj256ELj32ELb0EJPxPiS1_jEEvDpT3_,"axG",@progbits,_Z6kernelI26subtract_left_partial_tileLj256ELj32ELb0EJPxPiS1_jEEvDpT3_,comdat
.Lfunc_end143:
	.size	_Z6kernelI26subtract_left_partial_tileLj256ELj32ELb0EJPxPiS1_jEEvDpT3_, .Lfunc_end143-_Z6kernelI26subtract_left_partial_tileLj256ELj32ELb0EJPxPiS1_jEEvDpT3_
                                        ; -- End function
	.section	.AMDGPU.csdata,"",@progbits
; Kernel info:
; codeLenInByte = 3136
; NumSgprs: 18
; NumVgprs: 122
; NumAgprs: 0
; TotalNumVgprs: 122
; ScratchSize: 0
; MemoryBound: 0
; FloatMode: 240
; IeeeMode: 1
; LDSByteSize: 4096 bytes/workgroup (compile time only)
; SGPRBlocks: 2
; VGPRBlocks: 15
; NumSGPRsForWavesPerEU: 18
; NumVGPRsForWavesPerEU: 122
; AccumOffset: 124
; Occupancy: 4
; WaveLimiterHint : 1
; COMPUTE_PGM_RSRC2:SCRATCH_EN: 0
; COMPUTE_PGM_RSRC2:USER_SGPR: 6
; COMPUTE_PGM_RSRC2:TRAP_HANDLER: 0
; COMPUTE_PGM_RSRC2:TGID_X_EN: 1
; COMPUTE_PGM_RSRC2:TGID_Y_EN: 0
; COMPUTE_PGM_RSRC2:TGID_Z_EN: 0
; COMPUTE_PGM_RSRC2:TIDIG_COMP_CNT: 0
; COMPUTE_PGM_RSRC3_GFX90A:ACCUM_OFFSET: 30
; COMPUTE_PGM_RSRC3_GFX90A:TG_SPLIT: 0
	.section	.text._Z6kernelI26subtract_left_partial_tileLj256ELj1ELb0EJPdPiS1_jEEvDpT3_,"axG",@progbits,_Z6kernelI26subtract_left_partial_tileLj256ELj1ELb0EJPdPiS1_jEEvDpT3_,comdat
	.protected	_Z6kernelI26subtract_left_partial_tileLj256ELj1ELb0EJPdPiS1_jEEvDpT3_ ; -- Begin function _Z6kernelI26subtract_left_partial_tileLj256ELj1ELb0EJPdPiS1_jEEvDpT3_
	.globl	_Z6kernelI26subtract_left_partial_tileLj256ELj1ELb0EJPdPiS1_jEEvDpT3_
	.p2align	8
	.type	_Z6kernelI26subtract_left_partial_tileLj256ELj1ELb0EJPdPiS1_jEEvDpT3_,@function
_Z6kernelI26subtract_left_partial_tileLj256ELj1ELb0EJPdPiS1_jEEvDpT3_: ; @_Z6kernelI26subtract_left_partial_tileLj256ELj1ELb0EJPdPiS1_jEEvDpT3_
; %bb.0:
	s_load_dwordx4 s[12:15], s[4:5], 0x0
	s_load_dwordx2 s[2:3], s[4:5], 0x10
	s_lshl_b32 s0, s6, 8
	s_mov_b32 s1, 0
	s_lshl_b64 s[8:9], s[0:1], 3
	s_waitcnt lgkmcnt(0)
	s_add_u32 s10, s12, s8
	s_addc_u32 s11, s13, s9
	v_lshlrev_b32_e32 v1, 3, v0
	global_load_dwordx2 v[2:3], v1, s[10:11]
	s_load_dword s10, s[4:5], 0x18
	s_mov_b32 s7, s1
	s_lshl_b64 s[0:1], s[6:7], 2
	s_add_u32 s0, s14, s0
	s_addc_u32 s1, s15, s1
	s_waitcnt lgkmcnt(0)
	v_cvt_f32_u32_e32 v4, s10
	s_load_dword s4, s[0:1], 0x0
	s_sub_i32 s0, 0, s10
	v_cmp_ne_u32_e32 vcc, 0, v0
	v_rcp_iflag_f32_e32 v4, v4
	v_add_u32_e32 v6, -8, v1
	v_mul_f32_e32 v4, 0x4f7ffffe, v4
	v_cvt_u32_f32_e32 v4, v4
	v_readfirstlane_b32 s1, v4
	s_mul_i32 s0, s0, s1
	s_mul_hi_u32 s0, s1, s0
	s_add_i32 s1, s1, s0
	s_lshr_b32 s0, s1, 24
	s_mul_i32 s1, s0, s10
	s_sub_i32 s1, 0x100, s1
	s_add_i32 s5, s0, 1
	s_sub_i32 s6, s1, s10
	s_cmp_ge_u32 s1, s10
	s_cselect_b32 s0, s5, s0
	s_cselect_b32 s1, s6, s1
	s_add_i32 s5, s0, 1
	s_cmp_ge_u32 s1, s10
	s_cselect_b32 s5, s5, s0
	s_add_i32 s5, s5, 1
	s_max_u32 s6, s10, 1
	s_branch .LBB144_2
.LBB144_1:                              ;   in Loop: Header=BB144_2 Depth=1
	s_or_b64 exec, exec, s[0:1]
	s_add_i32 s0, s5, s4
	s_and_b32 s4, s0, 0xff
	s_add_i32 s6, s6, -1
	v_add_f64 v[2:3], v[2:3], v[4:5]
	s_cmp_lg_u32 s6, 0
	s_barrier
	s_cbranch_scc0 .LBB144_4
.LBB144_2:                              ; =>This Inner Loop Header: Depth=1
	s_waitcnt lgkmcnt(0)
	v_cmp_gt_u32_e64 s[0:1], s4, v0
	s_and_b64 s[10:11], vcc, s[0:1]
	s_waitcnt vmcnt(0)
	v_pk_mov_b32 v[4:5], v[2:3], v[2:3] op_sel:[0,1]
	ds_write_b64 v1, v[2:3]
	s_waitcnt lgkmcnt(0)
	s_barrier
	s_and_saveexec_b64 s[0:1], s[10:11]
	s_cbranch_execz .LBB144_1
; %bb.3:                                ;   in Loop: Header=BB144_2 Depth=1
	ds_read_b64 v[4:5], v6
	s_waitcnt lgkmcnt(0)
	v_add_f64 v[4:5], v[2:3], -v[4:5]
	s_branch .LBB144_1
.LBB144_4:
	s_add_u32 s0, s2, s8
	s_addc_u32 s1, s3, s9
	v_lshlrev_b32_e32 v0, 3, v0
	global_store_dwordx2 v0, v[2:3], s[0:1]
	s_endpgm
	.section	.rodata,"a",@progbits
	.p2align	6, 0x0
	.amdhsa_kernel _Z6kernelI26subtract_left_partial_tileLj256ELj1ELb0EJPdPiS1_jEEvDpT3_
		.amdhsa_group_segment_fixed_size 4096
		.amdhsa_private_segment_fixed_size 0
		.amdhsa_kernarg_size 28
		.amdhsa_user_sgpr_count 6
		.amdhsa_user_sgpr_private_segment_buffer 1
		.amdhsa_user_sgpr_dispatch_ptr 0
		.amdhsa_user_sgpr_queue_ptr 0
		.amdhsa_user_sgpr_kernarg_segment_ptr 1
		.amdhsa_user_sgpr_dispatch_id 0
		.amdhsa_user_sgpr_flat_scratch_init 0
		.amdhsa_user_sgpr_kernarg_preload_length 0
		.amdhsa_user_sgpr_kernarg_preload_offset 0
		.amdhsa_user_sgpr_private_segment_size 0
		.amdhsa_uses_dynamic_stack 0
		.amdhsa_system_sgpr_private_segment_wavefront_offset 0
		.amdhsa_system_sgpr_workgroup_id_x 1
		.amdhsa_system_sgpr_workgroup_id_y 0
		.amdhsa_system_sgpr_workgroup_id_z 0
		.amdhsa_system_sgpr_workgroup_info 0
		.amdhsa_system_vgpr_workitem_id 0
		.amdhsa_next_free_vgpr 7
		.amdhsa_next_free_sgpr 16
		.amdhsa_accum_offset 8
		.amdhsa_reserve_vcc 1
		.amdhsa_reserve_flat_scratch 0
		.amdhsa_float_round_mode_32 0
		.amdhsa_float_round_mode_16_64 0
		.amdhsa_float_denorm_mode_32 3
		.amdhsa_float_denorm_mode_16_64 3
		.amdhsa_dx10_clamp 1
		.amdhsa_ieee_mode 1
		.amdhsa_fp16_overflow 0
		.amdhsa_tg_split 0
		.amdhsa_exception_fp_ieee_invalid_op 0
		.amdhsa_exception_fp_denorm_src 0
		.amdhsa_exception_fp_ieee_div_zero 0
		.amdhsa_exception_fp_ieee_overflow 0
		.amdhsa_exception_fp_ieee_underflow 0
		.amdhsa_exception_fp_ieee_inexact 0
		.amdhsa_exception_int_div_zero 0
	.end_amdhsa_kernel
	.section	.text._Z6kernelI26subtract_left_partial_tileLj256ELj1ELb0EJPdPiS1_jEEvDpT3_,"axG",@progbits,_Z6kernelI26subtract_left_partial_tileLj256ELj1ELb0EJPdPiS1_jEEvDpT3_,comdat
.Lfunc_end144:
	.size	_Z6kernelI26subtract_left_partial_tileLj256ELj1ELb0EJPdPiS1_jEEvDpT3_, .Lfunc_end144-_Z6kernelI26subtract_left_partial_tileLj256ELj1ELb0EJPdPiS1_jEEvDpT3_
                                        ; -- End function
	.section	.AMDGPU.csdata,"",@progbits
; Kernel info:
; codeLenInByte = 336
; NumSgprs: 20
; NumVgprs: 7
; NumAgprs: 0
; TotalNumVgprs: 7
; ScratchSize: 0
; MemoryBound: 0
; FloatMode: 240
; IeeeMode: 1
; LDSByteSize: 4096 bytes/workgroup (compile time only)
; SGPRBlocks: 2
; VGPRBlocks: 0
; NumSGPRsForWavesPerEU: 20
; NumVGPRsForWavesPerEU: 7
; AccumOffset: 8
; Occupancy: 8
; WaveLimiterHint : 0
; COMPUTE_PGM_RSRC2:SCRATCH_EN: 0
; COMPUTE_PGM_RSRC2:USER_SGPR: 6
; COMPUTE_PGM_RSRC2:TRAP_HANDLER: 0
; COMPUTE_PGM_RSRC2:TGID_X_EN: 1
; COMPUTE_PGM_RSRC2:TGID_Y_EN: 0
; COMPUTE_PGM_RSRC2:TGID_Z_EN: 0
; COMPUTE_PGM_RSRC2:TIDIG_COMP_CNT: 0
; COMPUTE_PGM_RSRC3_GFX90A:ACCUM_OFFSET: 1
; COMPUTE_PGM_RSRC3_GFX90A:TG_SPLIT: 0
	.section	.text._Z6kernelI26subtract_left_partial_tileLj256ELj3ELb0EJPdPiS1_jEEvDpT3_,"axG",@progbits,_Z6kernelI26subtract_left_partial_tileLj256ELj3ELb0EJPdPiS1_jEEvDpT3_,comdat
	.protected	_Z6kernelI26subtract_left_partial_tileLj256ELj3ELb0EJPdPiS1_jEEvDpT3_ ; -- Begin function _Z6kernelI26subtract_left_partial_tileLj256ELj3ELb0EJPdPiS1_jEEvDpT3_
	.globl	_Z6kernelI26subtract_left_partial_tileLj256ELj3ELb0EJPdPiS1_jEEvDpT3_
	.p2align	8
	.type	_Z6kernelI26subtract_left_partial_tileLj256ELj3ELb0EJPdPiS1_jEEvDpT3_,@function
_Z6kernelI26subtract_left_partial_tileLj256ELj3ELb0EJPdPiS1_jEEvDpT3_: ; @_Z6kernelI26subtract_left_partial_tileLj256ELj3ELb0EJPdPiS1_jEEvDpT3_
; %bb.0:
	s_load_dwordx4 s[0:3], s[4:5], 0x0
	s_load_dwordx2 s[8:9], s[4:5], 0x10
	s_mul_i32 s12, s6, 0x300
	s_mov_b32 s13, 0
	s_lshl_b64 s[10:11], s[12:13], 3
	s_waitcnt lgkmcnt(0)
	s_add_u32 s0, s0, s10
	s_addc_u32 s1, s1, s11
	v_lshlrev_b32_e32 v1, 3, v0
	v_mov_b32_e32 v2, s1
	v_add_co_u32_e32 v6, vcc, s0, v1
	v_addc_co_u32_e32 v7, vcc, 0, v2, vcc
	global_load_dwordx2 v[2:3], v1, s[0:1]
	global_load_dwordx2 v[4:5], v1, s[0:1] offset:2048
	s_movk_i32 s0, 0x1000
	v_add_co_u32_e32 v6, vcc, s0, v6
	v_addc_co_u32_e32 v7, vcc, 0, v7, vcc
	global_load_dwordx2 v[6:7], v[6:7], off
	s_load_dword s4, s[4:5], 0x18
	s_mov_b32 s7, s13
	s_lshl_b64 s[0:1], s[6:7], 2
	s_add_u32 s0, s2, s0
	s_addc_u32 s1, s3, s1
	s_waitcnt lgkmcnt(0)
	v_cvt_f32_u32_e32 v8, s4
	s_load_dword s2, s[0:1], 0x0
	s_sub_i32 s0, 0, s4
	v_mul_u32_u24_e32 v10, 3, v0
	v_rcp_iflag_f32_e32 v8, v8
	v_mad_u32_u24 v11, v0, 3, 2
	v_mad_u32_u24 v12, v0, 3, 1
	v_cmp_ne_u32_e32 vcc, 0, v0
	v_mul_f32_e32 v8, 0x4f7ffffe, v8
	v_cvt_u32_f32_e32 v8, v8
	v_add_u32_e32 v13, -8, v1
	v_readfirstlane_b32 s1, v8
	s_mul_i32 s0, s0, s1
	s_mul_hi_u32 s0, s1, s0
	s_add_i32 s1, s1, s0
	s_mul_hi_u32 s0, s1, 0x300
	s_mul_i32 s1, s0, s4
	s_sub_i32 s1, 0x300, s1
	s_add_i32 s3, s0, 1
	s_sub_i32 s5, s1, s4
	s_cmp_ge_u32 s1, s4
	s_cselect_b32 s0, s3, s0
	s_cselect_b32 s1, s5, s1
	s_add_i32 s3, s0, 1
	s_cmp_ge_u32 s1, s4
	s_cselect_b32 s3, s3, s0
	s_add_i32 s3, s3, 1
	s_max_u32 s4, s4, 1
	s_branch .LBB145_2
.LBB145_1:                              ;   in Loop: Header=BB145_2 Depth=1
	s_or_b64 exec, exec, s[0:1]
	v_add_f64 v[14:15], v[6:7], -v[4:5]
	v_cmp_gt_u32_e64 s[0:1], s2, v11
	v_cndmask_b32_e64 v15, v7, v15, s[0:1]
	v_cndmask_b32_e64 v14, v6, v14, s[0:1]
	v_add_f64 v[16:17], v[4:5], -v[2:3]
	v_cmp_gt_u32_e64 s[0:1], s2, v12
	v_cndmask_b32_e64 v17, v5, v17, s[0:1]
	v_cndmask_b32_e64 v16, v4, v16, s[0:1]
	s_add_i32 s0, s3, s2
	s_mul_hi_u32 s1, s0, 0xaaaaaaab
	s_lshr_b32 s1, s1, 9
	s_mulk_i32 s1, 0x300
	s_sub_i32 s2, s0, s1
	s_add_i32 s4, s4, -1
	v_add_f64 v[2:3], v[2:3], v[8:9]
	v_add_f64 v[4:5], v[4:5], v[16:17]
	;; [unrolled: 1-line block ×3, first 2 shown]
	s_cmp_lg_u32 s4, 0
	s_barrier
	s_cbranch_scc0 .LBB145_4
.LBB145_2:                              ; =>This Inner Loop Header: Depth=1
	s_waitcnt lgkmcnt(0)
	v_cmp_gt_u32_e64 s[0:1], s2, v10
	s_and_b64 s[6:7], vcc, s[0:1]
	s_waitcnt vmcnt(2)
	v_pk_mov_b32 v[8:9], v[2:3], v[2:3] op_sel:[0,1]
	s_waitcnt vmcnt(0)
	ds_write_b64 v1, v[6:7]
	s_waitcnt lgkmcnt(0)
	s_barrier
	s_and_saveexec_b64 s[0:1], s[6:7]
	s_cbranch_execz .LBB145_1
; %bb.3:                                ;   in Loop: Header=BB145_2 Depth=1
	ds_read_b64 v[8:9], v13
	s_waitcnt lgkmcnt(0)
	v_add_f64 v[8:9], v[2:3], -v[8:9]
	s_branch .LBB145_1
.LBB145_4:
	s_add_u32 s0, s8, s10
	s_addc_u32 s1, s9, s11
	v_lshlrev_b32_e32 v0, 3, v0
	v_mov_b32_e32 v1, s1
	v_add_co_u32_e32 v8, vcc, s0, v0
	v_addc_co_u32_e32 v1, vcc, 0, v1, vcc
	global_store_dwordx2 v0, v[2:3], s[0:1]
	global_store_dwordx2 v0, v[4:5], s[0:1] offset:2048
	v_add_co_u32_e32 v0, vcc, 0x1000, v8
	v_addc_co_u32_e32 v1, vcc, 0, v1, vcc
	global_store_dwordx2 v[0:1], v[6:7], off
	s_endpgm
	.section	.rodata,"a",@progbits
	.p2align	6, 0x0
	.amdhsa_kernel _Z6kernelI26subtract_left_partial_tileLj256ELj3ELb0EJPdPiS1_jEEvDpT3_
		.amdhsa_group_segment_fixed_size 4096
		.amdhsa_private_segment_fixed_size 0
		.amdhsa_kernarg_size 28
		.amdhsa_user_sgpr_count 6
		.amdhsa_user_sgpr_private_segment_buffer 1
		.amdhsa_user_sgpr_dispatch_ptr 0
		.amdhsa_user_sgpr_queue_ptr 0
		.amdhsa_user_sgpr_kernarg_segment_ptr 1
		.amdhsa_user_sgpr_dispatch_id 0
		.amdhsa_user_sgpr_flat_scratch_init 0
		.amdhsa_user_sgpr_kernarg_preload_length 0
		.amdhsa_user_sgpr_kernarg_preload_offset 0
		.amdhsa_user_sgpr_private_segment_size 0
		.amdhsa_uses_dynamic_stack 0
		.amdhsa_system_sgpr_private_segment_wavefront_offset 0
		.amdhsa_system_sgpr_workgroup_id_x 1
		.amdhsa_system_sgpr_workgroup_id_y 0
		.amdhsa_system_sgpr_workgroup_id_z 0
		.amdhsa_system_sgpr_workgroup_info 0
		.amdhsa_system_vgpr_workitem_id 0
		.amdhsa_next_free_vgpr 18
		.amdhsa_next_free_sgpr 14
		.amdhsa_accum_offset 20
		.amdhsa_reserve_vcc 1
		.amdhsa_reserve_flat_scratch 0
		.amdhsa_float_round_mode_32 0
		.amdhsa_float_round_mode_16_64 0
		.amdhsa_float_denorm_mode_32 3
		.amdhsa_float_denorm_mode_16_64 3
		.amdhsa_dx10_clamp 1
		.amdhsa_ieee_mode 1
		.amdhsa_fp16_overflow 0
		.amdhsa_tg_split 0
		.amdhsa_exception_fp_ieee_invalid_op 0
		.amdhsa_exception_fp_denorm_src 0
		.amdhsa_exception_fp_ieee_div_zero 0
		.amdhsa_exception_fp_ieee_overflow 0
		.amdhsa_exception_fp_ieee_underflow 0
		.amdhsa_exception_fp_ieee_inexact 0
		.amdhsa_exception_int_div_zero 0
	.end_amdhsa_kernel
	.section	.text._Z6kernelI26subtract_left_partial_tileLj256ELj3ELb0EJPdPiS1_jEEvDpT3_,"axG",@progbits,_Z6kernelI26subtract_left_partial_tileLj256ELj3ELb0EJPdPiS1_jEEvDpT3_,comdat
.Lfunc_end145:
	.size	_Z6kernelI26subtract_left_partial_tileLj256ELj3ELb0EJPdPiS1_jEEvDpT3_, .Lfunc_end145-_Z6kernelI26subtract_left_partial_tileLj256ELj3ELb0EJPdPiS1_jEEvDpT3_
                                        ; -- End function
	.section	.AMDGPU.csdata,"",@progbits
; Kernel info:
; codeLenInByte = 540
; NumSgprs: 18
; NumVgprs: 18
; NumAgprs: 0
; TotalNumVgprs: 18
; ScratchSize: 0
; MemoryBound: 0
; FloatMode: 240
; IeeeMode: 1
; LDSByteSize: 4096 bytes/workgroup (compile time only)
; SGPRBlocks: 2
; VGPRBlocks: 2
; NumSGPRsForWavesPerEU: 18
; NumVGPRsForWavesPerEU: 18
; AccumOffset: 20
; Occupancy: 8
; WaveLimiterHint : 1
; COMPUTE_PGM_RSRC2:SCRATCH_EN: 0
; COMPUTE_PGM_RSRC2:USER_SGPR: 6
; COMPUTE_PGM_RSRC2:TRAP_HANDLER: 0
; COMPUTE_PGM_RSRC2:TGID_X_EN: 1
; COMPUTE_PGM_RSRC2:TGID_Y_EN: 0
; COMPUTE_PGM_RSRC2:TGID_Z_EN: 0
; COMPUTE_PGM_RSRC2:TIDIG_COMP_CNT: 0
; COMPUTE_PGM_RSRC3_GFX90A:ACCUM_OFFSET: 4
; COMPUTE_PGM_RSRC3_GFX90A:TG_SPLIT: 0
	.section	.text._Z6kernelI26subtract_left_partial_tileLj256ELj4ELb0EJPdPiS1_jEEvDpT3_,"axG",@progbits,_Z6kernelI26subtract_left_partial_tileLj256ELj4ELb0EJPdPiS1_jEEvDpT3_,comdat
	.protected	_Z6kernelI26subtract_left_partial_tileLj256ELj4ELb0EJPdPiS1_jEEvDpT3_ ; -- Begin function _Z6kernelI26subtract_left_partial_tileLj256ELj4ELb0EJPdPiS1_jEEvDpT3_
	.globl	_Z6kernelI26subtract_left_partial_tileLj256ELj4ELb0EJPdPiS1_jEEvDpT3_
	.p2align	8
	.type	_Z6kernelI26subtract_left_partial_tileLj256ELj4ELb0EJPdPiS1_jEEvDpT3_,@function
_Z6kernelI26subtract_left_partial_tileLj256ELj4ELb0EJPdPiS1_jEEvDpT3_: ; @_Z6kernelI26subtract_left_partial_tileLj256ELj4ELb0EJPdPiS1_jEEvDpT3_
; %bb.0:
	s_load_dwordx4 s[0:3], s[4:5], 0x0
	s_load_dwordx2 s[8:9], s[4:5], 0x10
	s_lshl_b32 s12, s6, 10
	s_mov_b32 s13, 0
	s_lshl_b64 s[10:11], s[12:13], 3
	s_waitcnt lgkmcnt(0)
	s_add_u32 s0, s0, s10
	s_addc_u32 s1, s1, s11
	v_lshlrev_b32_e32 v1, 3, v0
	v_mov_b32_e32 v2, s1
	v_add_co_u32_e32 v6, vcc, s0, v1
	v_addc_co_u32_e32 v7, vcc, 0, v2, vcc
	global_load_dwordx2 v[2:3], v1, s[0:1]
	global_load_dwordx2 v[4:5], v1, s[0:1] offset:2048
	s_movk_i32 s0, 0x1000
	v_add_co_u32_e32 v10, vcc, s0, v6
	v_addc_co_u32_e32 v11, vcc, 0, v7, vcc
	global_load_dwordx2 v[6:7], v[10:11], off
	global_load_dwordx2 v[8:9], v[10:11], off offset:2048
	s_load_dword s4, s[4:5], 0x18
	s_mov_b32 s7, s13
	s_lshl_b64 s[0:1], s[6:7], 2
	s_add_u32 s0, s2, s0
	s_addc_u32 s1, s3, s1
	s_waitcnt lgkmcnt(0)
	v_cvt_f32_u32_e32 v10, s4
	s_load_dword s2, s[0:1], 0x0
	s_sub_i32 s0, 0, s4
	v_lshlrev_b32_e32 v12, 2, v0
	v_rcp_iflag_f32_e32 v10, v10
	v_or_b32_e32 v13, 3, v12
	v_or_b32_e32 v14, 2, v12
	;; [unrolled: 1-line block ×3, first 2 shown]
	v_mul_f32_e32 v10, 0x4f7ffffe, v10
	v_cvt_u32_f32_e32 v10, v10
	v_cmp_ne_u32_e32 vcc, 0, v0
	v_add_u32_e32 v16, -8, v1
	v_readfirstlane_b32 s1, v10
	s_mul_i32 s0, s0, s1
	s_mul_hi_u32 s0, s1, s0
	s_add_i32 s1, s1, s0
	s_lshr_b32 s0, s1, 22
	s_mul_i32 s1, s0, s4
	s_sub_i32 s1, 0x400, s1
	s_add_i32 s3, s0, 1
	s_sub_i32 s5, s1, s4
	s_cmp_ge_u32 s1, s4
	s_cselect_b32 s0, s3, s0
	s_cselect_b32 s1, s5, s1
	s_add_i32 s3, s0, 1
	s_cmp_ge_u32 s1, s4
	s_cselect_b32 s3, s3, s0
	s_add_i32 s3, s3, 1
	s_max_u32 s4, s4, 1
	s_branch .LBB146_2
.LBB146_1:                              ;   in Loop: Header=BB146_2 Depth=1
	s_or_b64 exec, exec, s[0:1]
	v_add_f64 v[18:19], v[8:9], -v[6:7]
	v_cmp_gt_u32_e64 s[0:1], s2, v13
	v_cndmask_b32_e64 v19, v9, v19, s[0:1]
	v_cndmask_b32_e64 v18, v8, v18, s[0:1]
	v_add_f64 v[20:21], v[6:7], -v[4:5]
	v_cmp_gt_u32_e64 s[0:1], s2, v14
	v_cndmask_b32_e64 v21, v7, v21, s[0:1]
	v_cndmask_b32_e64 v20, v6, v20, s[0:1]
	;; [unrolled: 4-line block ×3, first 2 shown]
	s_add_i32 s0, s3, s2
	s_and_b32 s2, s0, 0x3ff
	s_add_i32 s4, s4, -1
	v_add_f64 v[2:3], v[2:3], v[10:11]
	v_add_f64 v[4:5], v[4:5], v[22:23]
	;; [unrolled: 1-line block ×4, first 2 shown]
	s_cmp_lg_u32 s4, 0
	s_barrier
	s_cbranch_scc0 .LBB146_4
.LBB146_2:                              ; =>This Inner Loop Header: Depth=1
	s_waitcnt lgkmcnt(0)
	v_cmp_gt_u32_e64 s[0:1], s2, v12
	s_and_b64 s[6:7], vcc, s[0:1]
	s_waitcnt vmcnt(3)
	v_pk_mov_b32 v[10:11], v[2:3], v[2:3] op_sel:[0,1]
	s_waitcnt vmcnt(0)
	ds_write_b64 v1, v[8:9]
	s_waitcnt lgkmcnt(0)
	s_barrier
	s_and_saveexec_b64 s[0:1], s[6:7]
	s_cbranch_execz .LBB146_1
; %bb.3:                                ;   in Loop: Header=BB146_2 Depth=1
	ds_read_b64 v[10:11], v16
	s_waitcnt lgkmcnt(0)
	v_add_f64 v[10:11], v[2:3], -v[10:11]
	s_branch .LBB146_1
.LBB146_4:
	s_add_u32 s0, s8, s10
	s_addc_u32 s1, s9, s11
	v_lshlrev_b32_e32 v0, 3, v0
	v_mov_b32_e32 v1, s1
	v_add_co_u32_e32 v10, vcc, s0, v0
	v_addc_co_u32_e32 v1, vcc, 0, v1, vcc
	global_store_dwordx2 v0, v[2:3], s[0:1]
	global_store_dwordx2 v0, v[4:5], s[0:1] offset:2048
	v_add_co_u32_e32 v0, vcc, 0x1000, v10
	v_addc_co_u32_e32 v1, vcc, 0, v1, vcc
	global_store_dwordx2 v[0:1], v[6:7], off
	global_store_dwordx2 v[0:1], v[8:9], off offset:2048
	s_endpgm
	.section	.rodata,"a",@progbits
	.p2align	6, 0x0
	.amdhsa_kernel _Z6kernelI26subtract_left_partial_tileLj256ELj4ELb0EJPdPiS1_jEEvDpT3_
		.amdhsa_group_segment_fixed_size 4096
		.amdhsa_private_segment_fixed_size 0
		.amdhsa_kernarg_size 28
		.amdhsa_user_sgpr_count 6
		.amdhsa_user_sgpr_private_segment_buffer 1
		.amdhsa_user_sgpr_dispatch_ptr 0
		.amdhsa_user_sgpr_queue_ptr 0
		.amdhsa_user_sgpr_kernarg_segment_ptr 1
		.amdhsa_user_sgpr_dispatch_id 0
		.amdhsa_user_sgpr_flat_scratch_init 0
		.amdhsa_user_sgpr_kernarg_preload_length 0
		.amdhsa_user_sgpr_kernarg_preload_offset 0
		.amdhsa_user_sgpr_private_segment_size 0
		.amdhsa_uses_dynamic_stack 0
		.amdhsa_system_sgpr_private_segment_wavefront_offset 0
		.amdhsa_system_sgpr_workgroup_id_x 1
		.amdhsa_system_sgpr_workgroup_id_y 0
		.amdhsa_system_sgpr_workgroup_id_z 0
		.amdhsa_system_sgpr_workgroup_info 0
		.amdhsa_system_vgpr_workitem_id 0
		.amdhsa_next_free_vgpr 24
		.amdhsa_next_free_sgpr 14
		.amdhsa_accum_offset 24
		.amdhsa_reserve_vcc 1
		.amdhsa_reserve_flat_scratch 0
		.amdhsa_float_round_mode_32 0
		.amdhsa_float_round_mode_16_64 0
		.amdhsa_float_denorm_mode_32 3
		.amdhsa_float_denorm_mode_16_64 3
		.amdhsa_dx10_clamp 1
		.amdhsa_ieee_mode 1
		.amdhsa_fp16_overflow 0
		.amdhsa_tg_split 0
		.amdhsa_exception_fp_ieee_invalid_op 0
		.amdhsa_exception_fp_denorm_src 0
		.amdhsa_exception_fp_ieee_div_zero 0
		.amdhsa_exception_fp_ieee_overflow 0
		.amdhsa_exception_fp_ieee_underflow 0
		.amdhsa_exception_fp_ieee_inexact 0
		.amdhsa_exception_int_div_zero 0
	.end_amdhsa_kernel
	.section	.text._Z6kernelI26subtract_left_partial_tileLj256ELj4ELb0EJPdPiS1_jEEvDpT3_,"axG",@progbits,_Z6kernelI26subtract_left_partial_tileLj256ELj4ELb0EJPdPiS1_jEEvDpT3_,comdat
.Lfunc_end146:
	.size	_Z6kernelI26subtract_left_partial_tileLj256ELj4ELb0EJPdPiS1_jEEvDpT3_, .Lfunc_end146-_Z6kernelI26subtract_left_partial_tileLj256ELj4ELb0EJPdPiS1_jEEvDpT3_
                                        ; -- End function
	.section	.AMDGPU.csdata,"",@progbits
; Kernel info:
; codeLenInByte = 572
; NumSgprs: 18
; NumVgprs: 24
; NumAgprs: 0
; TotalNumVgprs: 24
; ScratchSize: 0
; MemoryBound: 0
; FloatMode: 240
; IeeeMode: 1
; LDSByteSize: 4096 bytes/workgroup (compile time only)
; SGPRBlocks: 2
; VGPRBlocks: 2
; NumSGPRsForWavesPerEU: 18
; NumVGPRsForWavesPerEU: 24
; AccumOffset: 24
; Occupancy: 8
; WaveLimiterHint : 1
; COMPUTE_PGM_RSRC2:SCRATCH_EN: 0
; COMPUTE_PGM_RSRC2:USER_SGPR: 6
; COMPUTE_PGM_RSRC2:TRAP_HANDLER: 0
; COMPUTE_PGM_RSRC2:TGID_X_EN: 1
; COMPUTE_PGM_RSRC2:TGID_Y_EN: 0
; COMPUTE_PGM_RSRC2:TGID_Z_EN: 0
; COMPUTE_PGM_RSRC2:TIDIG_COMP_CNT: 0
; COMPUTE_PGM_RSRC3_GFX90A:ACCUM_OFFSET: 5
; COMPUTE_PGM_RSRC3_GFX90A:TG_SPLIT: 0
	.section	.text._Z6kernelI26subtract_left_partial_tileLj256ELj8ELb0EJPdPiS1_jEEvDpT3_,"axG",@progbits,_Z6kernelI26subtract_left_partial_tileLj256ELj8ELb0EJPdPiS1_jEEvDpT3_,comdat
	.protected	_Z6kernelI26subtract_left_partial_tileLj256ELj8ELb0EJPdPiS1_jEEvDpT3_ ; -- Begin function _Z6kernelI26subtract_left_partial_tileLj256ELj8ELb0EJPdPiS1_jEEvDpT3_
	.globl	_Z6kernelI26subtract_left_partial_tileLj256ELj8ELb0EJPdPiS1_jEEvDpT3_
	.p2align	8
	.type	_Z6kernelI26subtract_left_partial_tileLj256ELj8ELb0EJPdPiS1_jEEvDpT3_,@function
_Z6kernelI26subtract_left_partial_tileLj256ELj8ELb0EJPdPiS1_jEEvDpT3_: ; @_Z6kernelI26subtract_left_partial_tileLj256ELj8ELb0EJPdPiS1_jEEvDpT3_
; %bb.0:
	s_load_dwordx4 s[0:3], s[4:5], 0x0
	s_load_dwordx2 s[8:9], s[4:5], 0x10
	s_lshl_b32 s12, s6, 11
	s_mov_b32 s13, 0
	s_lshl_b64 s[10:11], s[12:13], 3
	s_waitcnt lgkmcnt(0)
	s_add_u32 s0, s0, s10
	s_addc_u32 s1, s1, s11
	v_lshlrev_b32_e32 v1, 3, v0
	v_mov_b32_e32 v2, s1
	v_add_co_u32_e32 v12, vcc, s0, v1
	v_addc_co_u32_e32 v13, vcc, 0, v2, vcc
	global_load_dwordx2 v[4:5], v1, s[0:1]
	global_load_dwordx2 v[2:3], v1, s[0:1] offset:2048
	s_movk_i32 s0, 0x1000
	v_add_co_u32_e32 v18, vcc, s0, v12
	v_addc_co_u32_e32 v19, vcc, 0, v13, vcc
	s_movk_i32 s0, 0x2000
	v_add_co_u32_e32 v10, vcc, s0, v12
	v_addc_co_u32_e32 v11, vcc, 0, v13, vcc
	s_movk_i32 s0, 0x3000
	v_add_co_u32_e32 v20, vcc, s0, v12
	global_load_dwordx2 v[14:15], v[10:11], off offset:-4096
	global_load_dwordx2 v[8:9], v[10:11], off
	global_load_dwordx2 v[6:7], v[10:11], off offset:2048
	v_addc_co_u32_e32 v21, vcc, 0, v13, vcc
	global_load_dwordx2 v[16:17], v[18:19], off offset:2048
	global_load_dwordx2 v[12:13], v[20:21], off
	global_load_dwordx2 v[10:11], v[20:21], off offset:2048
	s_load_dword s4, s[4:5], 0x18
	s_mov_b32 s7, s13
	s_lshl_b64 s[0:1], s[6:7], 2
	s_add_u32 s0, s2, s0
	s_addc_u32 s1, s3, s1
	s_waitcnt lgkmcnt(0)
	v_cvt_f32_u32_e32 v18, s4
	s_load_dword s2, s[0:1], 0x0
	s_sub_i32 s0, 0, s4
	v_or_b32_e32 v20, 7, v1
	v_rcp_iflag_f32_e32 v18, v18
	v_or_b32_e32 v21, 6, v1
	v_or_b32_e32 v22, 5, v1
	;; [unrolled: 1-line block ×3, first 2 shown]
	v_mul_f32_e32 v18, 0x4f7ffffe, v18
	v_cvt_u32_f32_e32 v18, v18
	v_or_b32_e32 v24, 3, v1
	v_or_b32_e32 v25, 2, v1
	;; [unrolled: 1-line block ×3, first 2 shown]
	v_readfirstlane_b32 s1, v18
	s_mul_i32 s0, s0, s1
	s_mul_hi_u32 s0, s1, s0
	s_add_i32 s1, s1, s0
	s_lshr_b32 s0, s1, 21
	s_mul_i32 s1, s0, s4
	s_sub_i32 s1, 0x800, s1
	s_add_i32 s3, s0, 1
	s_sub_i32 s5, s1, s4
	s_cmp_ge_u32 s1, s4
	s_cselect_b32 s0, s3, s0
	s_cselect_b32 s1, s5, s1
	s_add_i32 s3, s0, 1
	s_cmp_ge_u32 s1, s4
	s_cselect_b32 s3, s3, s0
	s_add_i32 s3, s3, 1
	v_cmp_ne_u32_e32 vcc, 0, v0
	v_add_u32_e32 v27, -8, v1
	s_max_u32 s4, s4, 1
	s_branch .LBB147_2
.LBB147_1:                              ;   in Loop: Header=BB147_2 Depth=1
	s_or_b64 exec, exec, s[0:1]
	v_add_f64 v[28:29], v[10:11], -v[12:13]
	v_cmp_gt_u32_e64 s[0:1], s2, v20
	v_cndmask_b32_e64 v29, v11, v29, s[0:1]
	v_cndmask_b32_e64 v28, v10, v28, s[0:1]
	v_add_f64 v[30:31], v[12:13], -v[6:7]
	v_cmp_gt_u32_e64 s[0:1], s2, v21
	v_cndmask_b32_e64 v31, v13, v31, s[0:1]
	v_cndmask_b32_e64 v30, v12, v30, s[0:1]
	;; [unrolled: 4-line block ×7, first 2 shown]
	s_add_i32 s0, s3, s2
	s_and_b32 s2, s0, 0x7ff
	s_add_i32 s4, s4, -1
	v_add_f64 v[4:5], v[4:5], v[18:19]
	v_add_f64 v[2:3], v[2:3], v[40:41]
	;; [unrolled: 1-line block ×8, first 2 shown]
	s_cmp_lg_u32 s4, 0
	s_barrier
	s_cbranch_scc0 .LBB147_4
.LBB147_2:                              ; =>This Inner Loop Header: Depth=1
	s_waitcnt lgkmcnt(0)
	v_cmp_gt_u32_e64 s[0:1], s2, v1
	s_and_b64 s[6:7], vcc, s[0:1]
	s_waitcnt vmcnt(7)
	v_pk_mov_b32 v[18:19], v[4:5], v[4:5] op_sel:[0,1]
	s_waitcnt vmcnt(0)
	ds_write_b64 v1, v[10:11]
	s_waitcnt lgkmcnt(0)
	s_barrier
	s_and_saveexec_b64 s[0:1], s[6:7]
	s_cbranch_execz .LBB147_1
; %bb.3:                                ;   in Loop: Header=BB147_2 Depth=1
	ds_read_b64 v[18:19], v27
	s_waitcnt lgkmcnt(0)
	v_add_f64 v[18:19], v[4:5], -v[18:19]
	s_branch .LBB147_1
.LBB147_4:
	s_add_u32 s0, s8, s10
	s_addc_u32 s1, s9, s11
	v_lshlrev_b32_e32 v0, 3, v0
	v_mov_b32_e32 v1, s1
	v_add_co_u32_e32 v18, vcc, s0, v0
	v_addc_co_u32_e32 v19, vcc, 0, v1, vcc
	global_store_dwordx2 v0, v[4:5], s[0:1]
	global_store_dwordx2 v0, v[2:3], s[0:1] offset:2048
	v_add_co_u32_e32 v0, vcc, 0x1000, v18
	v_addc_co_u32_e32 v1, vcc, 0, v19, vcc
	global_store_dwordx2 v[0:1], v[14:15], off
	global_store_dwordx2 v[0:1], v[16:17], off offset:2048
	v_add_co_u32_e32 v0, vcc, 0x2000, v18
	v_addc_co_u32_e32 v1, vcc, 0, v19, vcc
	global_store_dwordx2 v[0:1], v[8:9], off
	global_store_dwordx2 v[0:1], v[6:7], off offset:2048
	;; [unrolled: 4-line block ×3, first 2 shown]
	s_endpgm
	.section	.rodata,"a",@progbits
	.p2align	6, 0x0
	.amdhsa_kernel _Z6kernelI26subtract_left_partial_tileLj256ELj8ELb0EJPdPiS1_jEEvDpT3_
		.amdhsa_group_segment_fixed_size 4096
		.amdhsa_private_segment_fixed_size 0
		.amdhsa_kernarg_size 28
		.amdhsa_user_sgpr_count 6
		.amdhsa_user_sgpr_private_segment_buffer 1
		.amdhsa_user_sgpr_dispatch_ptr 0
		.amdhsa_user_sgpr_queue_ptr 0
		.amdhsa_user_sgpr_kernarg_segment_ptr 1
		.amdhsa_user_sgpr_dispatch_id 0
		.amdhsa_user_sgpr_flat_scratch_init 0
		.amdhsa_user_sgpr_kernarg_preload_length 0
		.amdhsa_user_sgpr_kernarg_preload_offset 0
		.amdhsa_user_sgpr_private_segment_size 0
		.amdhsa_uses_dynamic_stack 0
		.amdhsa_system_sgpr_private_segment_wavefront_offset 0
		.amdhsa_system_sgpr_workgroup_id_x 1
		.amdhsa_system_sgpr_workgroup_id_y 0
		.amdhsa_system_sgpr_workgroup_id_z 0
		.amdhsa_system_sgpr_workgroup_info 0
		.amdhsa_system_vgpr_workitem_id 0
		.amdhsa_next_free_vgpr 42
		.amdhsa_next_free_sgpr 14
		.amdhsa_accum_offset 44
		.amdhsa_reserve_vcc 1
		.amdhsa_reserve_flat_scratch 0
		.amdhsa_float_round_mode_32 0
		.amdhsa_float_round_mode_16_64 0
		.amdhsa_float_denorm_mode_32 3
		.amdhsa_float_denorm_mode_16_64 3
		.amdhsa_dx10_clamp 1
		.amdhsa_ieee_mode 1
		.amdhsa_fp16_overflow 0
		.amdhsa_tg_split 0
		.amdhsa_exception_fp_ieee_invalid_op 0
		.amdhsa_exception_fp_denorm_src 0
		.amdhsa_exception_fp_ieee_div_zero 0
		.amdhsa_exception_fp_ieee_overflow 0
		.amdhsa_exception_fp_ieee_underflow 0
		.amdhsa_exception_fp_ieee_inexact 0
		.amdhsa_exception_int_div_zero 0
	.end_amdhsa_kernel
	.section	.text._Z6kernelI26subtract_left_partial_tileLj256ELj8ELb0EJPdPiS1_jEEvDpT3_,"axG",@progbits,_Z6kernelI26subtract_left_partial_tileLj256ELj8ELb0EJPdPiS1_jEEvDpT3_,comdat
.Lfunc_end147:
	.size	_Z6kernelI26subtract_left_partial_tileLj256ELj8ELb0EJPdPiS1_jEEvDpT3_, .Lfunc_end147-_Z6kernelI26subtract_left_partial_tileLj256ELj8ELb0EJPdPiS1_jEEvDpT3_
                                        ; -- End function
	.section	.AMDGPU.csdata,"",@progbits
; Kernel info:
; codeLenInByte = 856
; NumSgprs: 18
; NumVgprs: 42
; NumAgprs: 0
; TotalNumVgprs: 42
; ScratchSize: 0
; MemoryBound: 0
; FloatMode: 240
; IeeeMode: 1
; LDSByteSize: 4096 bytes/workgroup (compile time only)
; SGPRBlocks: 2
; VGPRBlocks: 5
; NumSGPRsForWavesPerEU: 18
; NumVGPRsForWavesPerEU: 42
; AccumOffset: 44
; Occupancy: 8
; WaveLimiterHint : 1
; COMPUTE_PGM_RSRC2:SCRATCH_EN: 0
; COMPUTE_PGM_RSRC2:USER_SGPR: 6
; COMPUTE_PGM_RSRC2:TRAP_HANDLER: 0
; COMPUTE_PGM_RSRC2:TGID_X_EN: 1
; COMPUTE_PGM_RSRC2:TGID_Y_EN: 0
; COMPUTE_PGM_RSRC2:TGID_Z_EN: 0
; COMPUTE_PGM_RSRC2:TIDIG_COMP_CNT: 0
; COMPUTE_PGM_RSRC3_GFX90A:ACCUM_OFFSET: 10
; COMPUTE_PGM_RSRC3_GFX90A:TG_SPLIT: 0
	.section	.text._Z6kernelI26subtract_left_partial_tileLj256ELj16ELb0EJPdPiS1_jEEvDpT3_,"axG",@progbits,_Z6kernelI26subtract_left_partial_tileLj256ELj16ELb0EJPdPiS1_jEEvDpT3_,comdat
	.protected	_Z6kernelI26subtract_left_partial_tileLj256ELj16ELb0EJPdPiS1_jEEvDpT3_ ; -- Begin function _Z6kernelI26subtract_left_partial_tileLj256ELj16ELb0EJPdPiS1_jEEvDpT3_
	.globl	_Z6kernelI26subtract_left_partial_tileLj256ELj16ELb0EJPdPiS1_jEEvDpT3_
	.p2align	8
	.type	_Z6kernelI26subtract_left_partial_tileLj256ELj16ELb0EJPdPiS1_jEEvDpT3_,@function
_Z6kernelI26subtract_left_partial_tileLj256ELj16ELb0EJPdPiS1_jEEvDpT3_: ; @_Z6kernelI26subtract_left_partial_tileLj256ELj16ELb0EJPdPiS1_jEEvDpT3_
; %bb.0:
	s_load_dwordx4 s[0:3], s[4:5], 0x0
	s_load_dwordx2 s[8:9], s[4:5], 0x10
	s_lshl_b32 s12, s6, 12
	s_mov_b32 s13, 0
	s_lshl_b64 s[10:11], s[12:13], 3
	s_waitcnt lgkmcnt(0)
	s_add_u32 s0, s0, s10
	s_addc_u32 s1, s1, s11
	v_lshlrev_b32_e32 v1, 3, v0
	v_mov_b32_e32 v2, s1
	v_add_co_u32_e32 v28, vcc, s0, v1
	v_addc_co_u32_e32 v29, vcc, 0, v2, vcc
	global_load_dwordx2 v[4:5], v1, s[0:1]
	global_load_dwordx2 v[2:3], v1, s[0:1] offset:2048
	s_movk_i32 s0, 0x1000
	v_add_co_u32_e32 v34, vcc, s0, v28
	v_addc_co_u32_e32 v35, vcc, 0, v29, vcc
	s_movk_i32 s0, 0x2000
	v_add_co_u32_e32 v6, vcc, s0, v28
	v_addc_co_u32_e32 v7, vcc, 0, v29, vcc
	;; [unrolled: 3-line block ×6, first 2 shown]
	s_movk_i32 s0, 0x7000
	v_add_co_u32_e32 v40, vcc, s0, v28
	global_load_dwordx2 v[26:27], v[6:7], off offset:-4096
	global_load_dwordx2 v[20:21], v[6:7], off
	global_load_dwordx2 v[18:19], v[6:7], off offset:2048
	global_load_dwordx2 v[10:11], v[12:13], off offset:-4096
	global_load_dwordx2 v[24:25], v[12:13], off
	global_load_dwordx2 v[22:23], v[12:13], off offset:2048
	;; [unrolled: 3-line block ×3, first 2 shown]
	v_addc_co_u32_e32 v41, vcc, 0, v29, vcc
	global_load_dwordx2 v[32:33], v[34:35], off offset:2048
	global_load_dwordx2 v[30:31], v[36:37], off offset:2048
	;; [unrolled: 1-line block ×3, first 2 shown]
	global_load_dwordx2 v[14:15], v[40:41], off
	global_load_dwordx2 v[12:13], v[40:41], off offset:2048
	s_load_dword s4, s[4:5], 0x18
	s_mov_b32 s7, s13
	s_lshl_b64 s[0:1], s[6:7], 2
	s_add_u32 s0, s2, s0
	s_addc_u32 s1, s3, s1
	s_waitcnt lgkmcnt(0)
	v_cvt_f32_u32_e32 v34, s4
	s_load_dword s2, s[0:1], 0x0
	s_sub_i32 s0, 0, s4
	v_lshlrev_b32_e32 v36, 4, v0
	v_rcp_iflag_f32_e32 v34, v34
	v_or_b32_e32 v37, 15, v36
	v_or_b32_e32 v38, 14, v36
	;; [unrolled: 1-line block ×3, first 2 shown]
	v_mul_f32_e32 v34, 0x4f7ffffe, v34
	v_cvt_u32_f32_e32 v34, v34
	v_or_b32_e32 v40, 12, v36
	v_or_b32_e32 v41, 11, v36
	;; [unrolled: 1-line block ×3, first 2 shown]
	v_readfirstlane_b32 s1, v34
	s_mul_i32 s0, s0, s1
	s_mul_hi_u32 s0, s1, s0
	s_add_i32 s1, s1, s0
	s_lshr_b32 s0, s1, 20
	s_mul_i32 s1, s0, s4
	s_sub_i32 s1, 0x1000, s1
	s_add_i32 s3, s0, 1
	s_sub_i32 s5, s1, s4
	s_cmp_ge_u32 s1, s4
	s_cselect_b32 s0, s3, s0
	s_cselect_b32 s1, s5, s1
	s_add_i32 s3, s0, 1
	s_cmp_ge_u32 s1, s4
	s_cselect_b32 s3, s3, s0
	s_add_i32 s3, s3, 1
	v_or_b32_e32 v43, 9, v36
	v_or_b32_e32 v44, 8, v36
	;; [unrolled: 1-line block ×9, first 2 shown]
	v_cmp_ne_u32_e32 vcc, 0, v0
	v_add_u32_e32 v52, -8, v1
	s_max_u32 s4, s4, 1
	s_branch .LBB148_2
.LBB148_1:                              ;   in Loop: Header=BB148_2 Depth=1
	s_or_b64 exec, exec, s[0:1]
	v_add_f64 v[54:55], v[12:13], -v[14:15]
	v_cmp_gt_u32_e64 s[0:1], s2, v37
	v_cndmask_b32_e64 v55, v13, v55, s[0:1]
	v_cndmask_b32_e64 v54, v12, v54, s[0:1]
	v_add_f64 v[56:57], v[14:15], -v[6:7]
	v_cmp_gt_u32_e64 s[0:1], s2, v38
	v_cndmask_b32_e64 v57, v15, v57, s[0:1]
	v_cndmask_b32_e64 v56, v14, v56, s[0:1]
	;; [unrolled: 4-line block ×15, first 2 shown]
	s_add_i32 s0, s3, s2
	s_and_b32 s2, s0, 0xfff
	s_add_i32 s4, s4, -1
	v_add_f64 v[4:5], v[4:5], v[34:35]
	v_add_f64 v[2:3], v[2:3], v[82:83]
	;; [unrolled: 1-line block ×16, first 2 shown]
	s_cmp_lg_u32 s4, 0
	s_barrier
	s_cbranch_scc0 .LBB148_4
.LBB148_2:                              ; =>This Inner Loop Header: Depth=1
	s_waitcnt lgkmcnt(0)
	v_cmp_gt_u32_e64 s[0:1], s2, v36
	s_and_b64 s[6:7], vcc, s[0:1]
	s_waitcnt vmcnt(15)
	v_pk_mov_b32 v[34:35], v[4:5], v[4:5] op_sel:[0,1]
	s_waitcnt vmcnt(0)
	ds_write_b64 v1, v[12:13]
	s_waitcnt lgkmcnt(0)
	s_barrier
	s_and_saveexec_b64 s[0:1], s[6:7]
	s_cbranch_execz .LBB148_1
; %bb.3:                                ;   in Loop: Header=BB148_2 Depth=1
	ds_read_b64 v[34:35], v52
	s_waitcnt lgkmcnt(0)
	v_add_f64 v[34:35], v[4:5], -v[34:35]
	s_branch .LBB148_1
.LBB148_4:
	s_add_u32 s0, s8, s10
	s_addc_u32 s1, s9, s11
	v_lshlrev_b32_e32 v0, 3, v0
	v_mov_b32_e32 v1, s1
	v_add_co_u32_e32 v34, vcc, s0, v0
	v_addc_co_u32_e32 v35, vcc, 0, v1, vcc
	global_store_dwordx2 v0, v[4:5], s[0:1]
	global_store_dwordx2 v0, v[2:3], s[0:1] offset:2048
	v_add_co_u32_e32 v0, vcc, 0x1000, v34
	v_addc_co_u32_e32 v1, vcc, 0, v35, vcc
	global_store_dwordx2 v[0:1], v[26:27], off
	global_store_dwordx2 v[0:1], v[32:33], off offset:2048
	v_add_co_u32_e32 v0, vcc, 0x2000, v34
	v_addc_co_u32_e32 v1, vcc, 0, v35, vcc
	global_store_dwordx2 v[0:1], v[20:21], off
	global_store_dwordx2 v[0:1], v[18:19], off offset:2048
	;; [unrolled: 4-line block ×7, first 2 shown]
	s_endpgm
	.section	.rodata,"a",@progbits
	.p2align	6, 0x0
	.amdhsa_kernel _Z6kernelI26subtract_left_partial_tileLj256ELj16ELb0EJPdPiS1_jEEvDpT3_
		.amdhsa_group_segment_fixed_size 4096
		.amdhsa_private_segment_fixed_size 0
		.amdhsa_kernarg_size 28
		.amdhsa_user_sgpr_count 6
		.amdhsa_user_sgpr_private_segment_buffer 1
		.amdhsa_user_sgpr_dispatch_ptr 0
		.amdhsa_user_sgpr_queue_ptr 0
		.amdhsa_user_sgpr_kernarg_segment_ptr 1
		.amdhsa_user_sgpr_dispatch_id 0
		.amdhsa_user_sgpr_flat_scratch_init 0
		.amdhsa_user_sgpr_kernarg_preload_length 0
		.amdhsa_user_sgpr_kernarg_preload_offset 0
		.amdhsa_user_sgpr_private_segment_size 0
		.amdhsa_uses_dynamic_stack 0
		.amdhsa_system_sgpr_private_segment_wavefront_offset 0
		.amdhsa_system_sgpr_workgroup_id_x 1
		.amdhsa_system_sgpr_workgroup_id_y 0
		.amdhsa_system_sgpr_workgroup_id_z 0
		.amdhsa_system_sgpr_workgroup_info 0
		.amdhsa_system_vgpr_workitem_id 0
		.amdhsa_next_free_vgpr 84
		.amdhsa_next_free_sgpr 14
		.amdhsa_accum_offset 84
		.amdhsa_reserve_vcc 1
		.amdhsa_reserve_flat_scratch 0
		.amdhsa_float_round_mode_32 0
		.amdhsa_float_round_mode_16_64 0
		.amdhsa_float_denorm_mode_32 3
		.amdhsa_float_denorm_mode_16_64 3
		.amdhsa_dx10_clamp 1
		.amdhsa_ieee_mode 1
		.amdhsa_fp16_overflow 0
		.amdhsa_tg_split 0
		.amdhsa_exception_fp_ieee_invalid_op 0
		.amdhsa_exception_fp_denorm_src 0
		.amdhsa_exception_fp_ieee_div_zero 0
		.amdhsa_exception_fp_ieee_overflow 0
		.amdhsa_exception_fp_ieee_underflow 0
		.amdhsa_exception_fp_ieee_inexact 0
		.amdhsa_exception_int_div_zero 0
	.end_amdhsa_kernel
	.section	.text._Z6kernelI26subtract_left_partial_tileLj256ELj16ELb0EJPdPiS1_jEEvDpT3_,"axG",@progbits,_Z6kernelI26subtract_left_partial_tileLj256ELj16ELb0EJPdPiS1_jEEvDpT3_,comdat
.Lfunc_end148:
	.size	_Z6kernelI26subtract_left_partial_tileLj256ELj16ELb0EJPdPiS1_jEEvDpT3_, .Lfunc_end148-_Z6kernelI26subtract_left_partial_tileLj256ELj16ELb0EJPdPiS1_jEEvDpT3_
                                        ; -- End function
	.section	.AMDGPU.csdata,"",@progbits
; Kernel info:
; codeLenInByte = 1436
; NumSgprs: 18
; NumVgprs: 84
; NumAgprs: 0
; TotalNumVgprs: 84
; ScratchSize: 0
; MemoryBound: 0
; FloatMode: 240
; IeeeMode: 1
; LDSByteSize: 4096 bytes/workgroup (compile time only)
; SGPRBlocks: 2
; VGPRBlocks: 10
; NumSGPRsForWavesPerEU: 18
; NumVGPRsForWavesPerEU: 84
; AccumOffset: 84
; Occupancy: 5
; WaveLimiterHint : 1
; COMPUTE_PGM_RSRC2:SCRATCH_EN: 0
; COMPUTE_PGM_RSRC2:USER_SGPR: 6
; COMPUTE_PGM_RSRC2:TRAP_HANDLER: 0
; COMPUTE_PGM_RSRC2:TGID_X_EN: 1
; COMPUTE_PGM_RSRC2:TGID_Y_EN: 0
; COMPUTE_PGM_RSRC2:TGID_Z_EN: 0
; COMPUTE_PGM_RSRC2:TIDIG_COMP_CNT: 0
; COMPUTE_PGM_RSRC3_GFX90A:ACCUM_OFFSET: 20
; COMPUTE_PGM_RSRC3_GFX90A:TG_SPLIT: 0
	.section	.text._Z6kernelI26subtract_left_partial_tileLj256ELj32ELb0EJPdPiS1_jEEvDpT3_,"axG",@progbits,_Z6kernelI26subtract_left_partial_tileLj256ELj32ELb0EJPdPiS1_jEEvDpT3_,comdat
	.protected	_Z6kernelI26subtract_left_partial_tileLj256ELj32ELb0EJPdPiS1_jEEvDpT3_ ; -- Begin function _Z6kernelI26subtract_left_partial_tileLj256ELj32ELb0EJPdPiS1_jEEvDpT3_
	.globl	_Z6kernelI26subtract_left_partial_tileLj256ELj32ELb0EJPdPiS1_jEEvDpT3_
	.p2align	8
	.type	_Z6kernelI26subtract_left_partial_tileLj256ELj32ELb0EJPdPiS1_jEEvDpT3_,@function
_Z6kernelI26subtract_left_partial_tileLj256ELj32ELb0EJPdPiS1_jEEvDpT3_: ; @_Z6kernelI26subtract_left_partial_tileLj256ELj32ELb0EJPdPiS1_jEEvDpT3_
; %bb.0:
	s_load_dwordx4 s[0:3], s[4:5], 0x0
	s_load_dwordx2 s[8:9], s[4:5], 0x10
	s_lshl_b32 s12, s6, 13
	s_mov_b32 s13, 0
	s_lshl_b64 s[10:11], s[12:13], 3
	s_waitcnt lgkmcnt(0)
	s_add_u32 s0, s0, s10
	s_addc_u32 s1, s1, s11
	v_lshlrev_b32_e32 v1, 3, v0
	v_mov_b32_e32 v2, s1
	v_add_co_u32_e32 v46, vcc, s0, v1
	v_addc_co_u32_e32 v47, vcc, 0, v2, vcc
	s_movk_i32 s7, 0x1000
	v_add_co_u32_e32 v30, vcc, s7, v46
	v_addc_co_u32_e32 v31, vcc, 0, v47, vcc
	s_movk_i32 s7, 0x2000
	v_add_co_u32_e32 v2, vcc, s7, v46
	v_addc_co_u32_e32 v3, vcc, 0, v47, vcc
	s_movk_i32 s7, 0x3000
	v_add_co_u32_e32 v32, vcc, s7, v46
	v_addc_co_u32_e32 v33, vcc, 0, v47, vcc
	s_movk_i32 s7, 0x4000
	v_add_co_u32_e32 v12, vcc, s7, v46
	v_addc_co_u32_e32 v13, vcc, 0, v47, vcc
	s_movk_i32 s7, 0x5000
	v_add_co_u32_e32 v34, vcc, s7, v46
	v_addc_co_u32_e32 v35, vcc, 0, v47, vcc
	s_movk_i32 s7, 0x6000
	v_add_co_u32_e32 v36, vcc, s7, v46
	v_addc_co_u32_e32 v37, vcc, 0, v47, vcc
	s_movk_i32 s7, 0x7000
	v_add_co_u32_e32 v42, vcc, s7, v46
	v_addc_co_u32_e32 v43, vcc, 0, v47, vcc
	s_mov_b32 s7, 0x8000
	v_add_co_u32_e32 v44, vcc, s7, v46
	v_addc_co_u32_e32 v45, vcc, 0, v47, vcc
	s_mov_b32 s7, 0x9000
	;; [unrolled: 3-line block ×3, first 2 shown]
	global_load_dwordx2 v[22:23], v[2:3], off offset:-4096
	global_load_dwordx2 v[10:11], v[2:3], off
	global_load_dwordx2 v[8:9], v[2:3], off offset:2048
	global_load_dwordx2 v[4:5], v[12:13], off offset:-4096
	global_load_dwordx2 v[18:19], v[12:13], off
	global_load_dwordx2 v[16:17], v[12:13], off offset:2048
	global_load_dwordx2 v[6:7], v[36:37], off offset:-4096
	s_nop 0
	global_load_dwordx2 v[2:3], v[36:37], off
	global_load_dwordx2 v[40:41], v[30:31], off offset:2048
	global_load_dwordx2 v[38:39], v[32:33], off offset:2048
	;; [unrolled: 1-line block ×5, first 2 shown]
	global_load_dwordx2 v[24:25], v[44:45], off offset:-4096
	global_load_dwordx2 v[14:15], v[44:45], off
	global_load_dwordx2 v[12:13], v[44:45], off offset:2048
	v_add_co_u32_e32 v42, vcc, s7, v46
	v_addc_co_u32_e32 v43, vcc, 0, v47, vcc
	s_mov_b32 s7, 0xb000
	v_add_co_u32_e32 v68, vcc, s7, v46
	v_addc_co_u32_e32 v69, vcc, 0, v47, vcc
	s_mov_b32 s7, 0xc000
	;; [unrolled: 3-line block ×5, first 2 shown]
	v_add_co_u32_e32 v76, vcc, s7, v46
	global_load_dwordx2 v[36:37], v[42:43], off offset:-4096
	global_load_dwordx2 v[34:35], v[42:43], off
	global_load_dwordx2 v[32:33], v[42:43], off offset:2048
	global_load_dwordx2 v[30:31], v[70:71], off offset:-4096
	v_addc_co_u32_e32 v77, vcc, 0, v47, vcc
	global_load_dwordx2 v[56:57], v[70:71], off
	global_load_dwordx2 v[54:55], v[70:71], off offset:2048
	global_load_dwordx2 v[50:51], v[74:75], off offset:-4096
	global_load_dwordx2 v[48:49], v[74:75], off
	global_load_dwordx2 v[46:47], v[74:75], off offset:2048
	global_load_dwordx2 v[60:61], v[66:67], off offset:2048
	;; [unrolled: 1-line block ×4, first 2 shown]
	global_load_dwordx2 v[44:45], v[76:77], off
	global_load_dwordx2 v[42:43], v[76:77], off offset:2048
	global_load_dwordx2 v[64:65], v1, s[0:1]
	global_load_dwordx2 v[62:63], v1, s[0:1] offset:2048
	s_load_dword s4, s[4:5], 0x18
	s_mov_b32 s7, s13
	s_lshl_b64 s[0:1], s[6:7], 2
	s_add_u32 s0, s2, s0
	s_addc_u32 s1, s3, s1
	s_waitcnt lgkmcnt(0)
	v_cvt_f32_u32_e32 v66, s4
	s_load_dword s2, s[0:1], 0x0
	s_sub_i32 s0, 0, s4
	v_lshlrev_b32_e32 v76, 5, v0
	v_rcp_iflag_f32_e32 v66, v66
	v_cmp_ne_u32_e32 vcc, 0, v0
	v_or_b32_e32 v77, 31, v76
	v_or_b32_e32 v78, 30, v76
	v_mul_f32_e32 v66, 0x4f7ffffe, v66
	v_cvt_u32_f32_e32 v66, v66
	v_or_b32_e32 v79, 29, v76
	v_or_b32_e32 v80, 28, v76
	;; [unrolled: 1-line block ×3, first 2 shown]
	v_readfirstlane_b32 s5, v66
	s_mul_i32 s0, s0, s5
	s_mul_hi_u32 s0, s5, s0
	s_add_i32 s5, s5, s0
	s_lshr_b32 s0, s5, 19
	s_mul_i32 s1, s0, s4
	s_sub_i32 s1, 0x2000, s1
	s_add_i32 s3, s0, 1
	s_sub_i32 s5, s1, s4
	s_cmp_ge_u32 s1, s4
	s_cselect_b32 s0, s3, s0
	s_cselect_b32 s1, s5, s1
	s_add_i32 s3, s0, 1
	s_cmp_ge_u32 s1, s4
	s_cselect_b32 s3, s3, s0
	s_add_i32 s3, s3, 1
	s_max_u32 s4, s4, 1
	v_or_b32_e32 v82, 26, v76
	v_or_b32_e32 v83, 25, v76
	;; [unrolled: 1-line block ×26, first 2 shown]
	v_add_u32_e32 v108, -8, v1
	s_branch .LBB149_2
.LBB149_1:                              ;   in Loop: Header=BB149_2 Depth=1
	s_or_b64 exec, exec, s[0:1]
	v_add_f64 v[66:67], v[42:43], -v[44:45]
	v_cmp_gt_u32_e64 s[0:1], s2, v77
	v_cndmask_b32_e64 v67, v43, v67, s[0:1]
	v_cndmask_b32_e64 v66, v42, v66, s[0:1]
	v_add_f64 v[68:69], v[44:45], -v[46:47]
	v_cmp_gt_u32_e64 s[0:1], s2, v78
	v_cndmask_b32_e64 v69, v45, v69, s[0:1]
	v_cndmask_b32_e64 v68, v44, v68, s[0:1]
	;; [unrolled: 4-line block ×29, first 2 shown]
	s_waitcnt vmcnt(0)
	v_add_f64 v[160:161], v[22:23], -v[62:63]
	v_cmp_gt_u32_e64 s[0:1], s2, v106
	v_cndmask_b32_e64 v161, v23, v161, s[0:1]
	v_cndmask_b32_e64 v160, v22, v160, s[0:1]
	v_add_f64 v[162:163], v[62:63], -v[64:65]
	v_cmp_gt_u32_e64 s[0:1], s2, v107
	v_cndmask_b32_e64 v163, v63, v163, s[0:1]
	v_cndmask_b32_e64 v162, v62, v162, s[0:1]
	s_add_i32 s0, s3, s2
	s_and_b32 s2, s0, 0x1fff
	s_add_i32 s4, s4, -1
	v_add_f64 v[64:65], v[64:65], v[72:73]
	v_add_f64 v[62:63], v[62:63], v[162:163]
	;; [unrolled: 1-line block ×32, first 2 shown]
	s_cmp_lg_u32 s4, 0
	s_barrier
	s_cbranch_scc0 .LBB149_4
.LBB149_2:                              ; =>This Inner Loop Header: Depth=1
	s_waitcnt lgkmcnt(0)
	v_cmp_gt_u32_e64 s[0:1], s2, v76
	s_and_b64 s[6:7], vcc, s[0:1]
	s_waitcnt vmcnt(1)
	v_pk_mov_b32 v[72:73], v[64:65], v[64:65] op_sel:[0,1]
	ds_write_b64 v1, v[42:43]
	s_waitcnt lgkmcnt(0)
	s_barrier
	s_and_saveexec_b64 s[0:1], s[6:7]
	s_cbranch_execz .LBB149_1
; %bb.3:                                ;   in Loop: Header=BB149_2 Depth=1
	ds_read_b64 v[66:67], v108
	s_waitcnt lgkmcnt(0)
	v_add_f64 v[72:73], v[64:65], -v[66:67]
	s_branch .LBB149_1
.LBB149_4:
	s_add_u32 s0, s8, s10
	s_addc_u32 s1, s9, s11
	v_lshlrev_b32_e32 v0, 3, v0
	v_mov_b32_e32 v1, s1
	v_add_co_u32_e32 v66, vcc, s0, v0
	v_addc_co_u32_e32 v67, vcc, 0, v1, vcc
	global_store_dwordx2 v0, v[64:65], s[0:1]
	global_store_dwordx2 v0, v[62:63], s[0:1] offset:2048
	v_add_co_u32_e32 v0, vcc, 0x1000, v66
	v_addc_co_u32_e32 v1, vcc, 0, v67, vcc
	global_store_dwordx2 v[0:1], v[22:23], off
	global_store_dwordx2 v[0:1], v[40:41], off offset:2048
	v_add_co_u32_e32 v0, vcc, 0x2000, v66
	v_addc_co_u32_e32 v1, vcc, 0, v67, vcc
	global_store_dwordx2 v[0:1], v[10:11], off
	global_store_dwordx2 v[0:1], v[8:9], off offset:2048
	;; [unrolled: 4-line block ×15, first 2 shown]
	s_endpgm
	.section	.rodata,"a",@progbits
	.p2align	6, 0x0
	.amdhsa_kernel _Z6kernelI26subtract_left_partial_tileLj256ELj32ELb0EJPdPiS1_jEEvDpT3_
		.amdhsa_group_segment_fixed_size 4096
		.amdhsa_private_segment_fixed_size 0
		.amdhsa_kernarg_size 28
		.amdhsa_user_sgpr_count 6
		.amdhsa_user_sgpr_private_segment_buffer 1
		.amdhsa_user_sgpr_dispatch_ptr 0
		.amdhsa_user_sgpr_queue_ptr 0
		.amdhsa_user_sgpr_kernarg_segment_ptr 1
		.amdhsa_user_sgpr_dispatch_id 0
		.amdhsa_user_sgpr_flat_scratch_init 0
		.amdhsa_user_sgpr_kernarg_preload_length 0
		.amdhsa_user_sgpr_kernarg_preload_offset 0
		.amdhsa_user_sgpr_private_segment_size 0
		.amdhsa_uses_dynamic_stack 0
		.amdhsa_system_sgpr_private_segment_wavefront_offset 0
		.amdhsa_system_sgpr_workgroup_id_x 1
		.amdhsa_system_sgpr_workgroup_id_y 0
		.amdhsa_system_sgpr_workgroup_id_z 0
		.amdhsa_system_sgpr_workgroup_info 0
		.amdhsa_system_vgpr_workitem_id 0
		.amdhsa_next_free_vgpr 164
		.amdhsa_next_free_sgpr 14
		.amdhsa_accum_offset 164
		.amdhsa_reserve_vcc 1
		.amdhsa_reserve_flat_scratch 0
		.amdhsa_float_round_mode_32 0
		.amdhsa_float_round_mode_16_64 0
		.amdhsa_float_denorm_mode_32 3
		.amdhsa_float_denorm_mode_16_64 3
		.amdhsa_dx10_clamp 1
		.amdhsa_ieee_mode 1
		.amdhsa_fp16_overflow 0
		.amdhsa_tg_split 0
		.amdhsa_exception_fp_ieee_invalid_op 0
		.amdhsa_exception_fp_denorm_src 0
		.amdhsa_exception_fp_ieee_div_zero 0
		.amdhsa_exception_fp_ieee_overflow 0
		.amdhsa_exception_fp_ieee_underflow 0
		.amdhsa_exception_fp_ieee_inexact 0
		.amdhsa_exception_int_div_zero 0
	.end_amdhsa_kernel
	.section	.text._Z6kernelI26subtract_left_partial_tileLj256ELj32ELb0EJPdPiS1_jEEvDpT3_,"axG",@progbits,_Z6kernelI26subtract_left_partial_tileLj256ELj32ELb0EJPdPiS1_jEEvDpT3_,comdat
.Lfunc_end149:
	.size	_Z6kernelI26subtract_left_partial_tileLj256ELj32ELb0EJPdPiS1_jEEvDpT3_, .Lfunc_end149-_Z6kernelI26subtract_left_partial_tileLj256ELj32ELb0EJPdPiS1_jEEvDpT3_
                                        ; -- End function
	.section	.AMDGPU.csdata,"",@progbits
; Kernel info:
; codeLenInByte = 2624
; NumSgprs: 18
; NumVgprs: 164
; NumAgprs: 0
; TotalNumVgprs: 164
; ScratchSize: 0
; MemoryBound: 0
; FloatMode: 240
; IeeeMode: 1
; LDSByteSize: 4096 bytes/workgroup (compile time only)
; SGPRBlocks: 2
; VGPRBlocks: 20
; NumSGPRsForWavesPerEU: 18
; NumVGPRsForWavesPerEU: 164
; AccumOffset: 164
; Occupancy: 3
; WaveLimiterHint : 1
; COMPUTE_PGM_RSRC2:SCRATCH_EN: 0
; COMPUTE_PGM_RSRC2:USER_SGPR: 6
; COMPUTE_PGM_RSRC2:TRAP_HANDLER: 0
; COMPUTE_PGM_RSRC2:TGID_X_EN: 1
; COMPUTE_PGM_RSRC2:TGID_Y_EN: 0
; COMPUTE_PGM_RSRC2:TGID_Z_EN: 0
; COMPUTE_PGM_RSRC2:TIDIG_COMP_CNT: 0
; COMPUTE_PGM_RSRC3_GFX90A:ACCUM_OFFSET: 40
; COMPUTE_PGM_RSRC3_GFX90A:TG_SPLIT: 0
	.section	.text._Z6kernelI26subtract_left_partial_tileLj256ELj1ELb1EJPiS1_S1_jEEvDpT3_,"axG",@progbits,_Z6kernelI26subtract_left_partial_tileLj256ELj1ELb1EJPiS1_S1_jEEvDpT3_,comdat
	.protected	_Z6kernelI26subtract_left_partial_tileLj256ELj1ELb1EJPiS1_S1_jEEvDpT3_ ; -- Begin function _Z6kernelI26subtract_left_partial_tileLj256ELj1ELb1EJPiS1_S1_jEEvDpT3_
	.globl	_Z6kernelI26subtract_left_partial_tileLj256ELj1ELb1EJPiS1_S1_jEEvDpT3_
	.p2align	8
	.type	_Z6kernelI26subtract_left_partial_tileLj256ELj1ELb1EJPiS1_S1_jEEvDpT3_,@function
_Z6kernelI26subtract_left_partial_tileLj256ELj1ELb1EJPiS1_S1_jEEvDpT3_: ; @_Z6kernelI26subtract_left_partial_tileLj256ELj1ELb1EJPiS1_S1_jEEvDpT3_
; %bb.0:
	s_load_dwordx4 s[12:15], s[4:5], 0x0
	s_load_dwordx2 s[2:3], s[4:5], 0x10
	s_lshl_b32 s0, s6, 8
	s_mov_b32 s1, 0
	s_lshl_b64 s[8:9], s[0:1], 2
	s_waitcnt lgkmcnt(0)
	s_add_u32 s10, s12, s8
	s_addc_u32 s11, s13, s9
	v_lshlrev_b32_e32 v2, 2, v0
	global_load_dword v1, v2, s[10:11]
	s_load_dword s10, s[4:5], 0x18
	s_mov_b32 s7, s1
	s_lshl_b64 s[0:1], s[6:7], 2
	s_add_u32 s0, s14, s0
	s_addc_u32 s1, s15, s1
	s_waitcnt lgkmcnt(0)
	v_cvt_f32_u32_e32 v3, s10
	s_load_dword s4, s[0:1], 0x0
	s_sub_i32 s0, 0, s10
	v_cmp_ne_u32_e32 vcc, 0, v0
	v_rcp_iflag_f32_e32 v3, v3
	v_mul_f32_e32 v3, 0x4f7ffffe, v3
	v_cvt_u32_f32_e32 v3, v3
	v_readfirstlane_b32 s1, v3
	s_mul_i32 s0, s0, s1
	s_mul_hi_u32 s0, s1, s0
	s_add_i32 s1, s1, s0
	s_lshr_b32 s0, s1, 24
	s_mul_i32 s1, s0, s10
	s_sub_i32 s1, 0x100, s1
	s_add_i32 s5, s0, 1
	s_sub_i32 s6, s1, s10
	s_cmp_ge_u32 s1, s10
	s_cselect_b32 s0, s5, s0
	s_cselect_b32 s1, s6, s1
	s_add_i32 s5, s0, 1
	s_cmp_ge_u32 s1, s10
	s_cselect_b32 s5, s5, s0
	s_add_i32 s5, s5, 1
	v_add_u32_e32 v3, -4, v2
	s_max_u32 s6, s10, 1
	s_branch .LBB150_2
.LBB150_1:                              ;   in Loop: Header=BB150_2 Depth=1
	s_or_b64 exec, exec, s[0:1]
	v_cmp_gt_u32_e64 s[0:1], s4, v0
	s_waitcnt lgkmcnt(0)
	v_cndmask_b32_e64 v4, 0, v4, s[0:1]
	s_add_i32 s0, s5, s4
	v_lshlrev_b32_e32 v1, 1, v1
	s_and_b32 s4, s0, 0xff
	s_add_i32 s6, s6, -1
	v_sub_u32_e32 v1, v1, v4
	s_cmp_lg_u32 s6, 0
	s_barrier
	s_cbranch_scc0 .LBB150_4
.LBB150_2:                              ; =>This Inner Loop Header: Depth=1
	v_mov_b32_e32 v4, 0x7b
	s_waitcnt vmcnt(0)
	ds_write_b32 v2, v1
	s_waitcnt lgkmcnt(0)
	s_barrier
	s_and_saveexec_b64 s[0:1], vcc
	s_cbranch_execz .LBB150_1
; %bb.3:                                ;   in Loop: Header=BB150_2 Depth=1
	ds_read_b32 v4, v3
	s_branch .LBB150_1
.LBB150_4:
	s_add_u32 s0, s2, s8
	s_addc_u32 s1, s3, s9
	v_lshlrev_b32_e32 v0, 2, v0
	global_store_dword v0, v1, s[0:1]
	s_endpgm
	.section	.rodata,"a",@progbits
	.p2align	6, 0x0
	.amdhsa_kernel _Z6kernelI26subtract_left_partial_tileLj256ELj1ELb1EJPiS1_S1_jEEvDpT3_
		.amdhsa_group_segment_fixed_size 2048
		.amdhsa_private_segment_fixed_size 0
		.amdhsa_kernarg_size 28
		.amdhsa_user_sgpr_count 6
		.amdhsa_user_sgpr_private_segment_buffer 1
		.amdhsa_user_sgpr_dispatch_ptr 0
		.amdhsa_user_sgpr_queue_ptr 0
		.amdhsa_user_sgpr_kernarg_segment_ptr 1
		.amdhsa_user_sgpr_dispatch_id 0
		.amdhsa_user_sgpr_flat_scratch_init 0
		.amdhsa_user_sgpr_kernarg_preload_length 0
		.amdhsa_user_sgpr_kernarg_preload_offset 0
		.amdhsa_user_sgpr_private_segment_size 0
		.amdhsa_uses_dynamic_stack 0
		.amdhsa_system_sgpr_private_segment_wavefront_offset 0
		.amdhsa_system_sgpr_workgroup_id_x 1
		.amdhsa_system_sgpr_workgroup_id_y 0
		.amdhsa_system_sgpr_workgroup_id_z 0
		.amdhsa_system_sgpr_workgroup_info 0
		.amdhsa_system_vgpr_workitem_id 0
		.amdhsa_next_free_vgpr 5
		.amdhsa_next_free_sgpr 16
		.amdhsa_accum_offset 8
		.amdhsa_reserve_vcc 1
		.amdhsa_reserve_flat_scratch 0
		.amdhsa_float_round_mode_32 0
		.amdhsa_float_round_mode_16_64 0
		.amdhsa_float_denorm_mode_32 3
		.amdhsa_float_denorm_mode_16_64 3
		.amdhsa_dx10_clamp 1
		.amdhsa_ieee_mode 1
		.amdhsa_fp16_overflow 0
		.amdhsa_tg_split 0
		.amdhsa_exception_fp_ieee_invalid_op 0
		.amdhsa_exception_fp_denorm_src 0
		.amdhsa_exception_fp_ieee_div_zero 0
		.amdhsa_exception_fp_ieee_overflow 0
		.amdhsa_exception_fp_ieee_underflow 0
		.amdhsa_exception_fp_ieee_inexact 0
		.amdhsa_exception_int_div_zero 0
	.end_amdhsa_kernel
	.section	.text._Z6kernelI26subtract_left_partial_tileLj256ELj1ELb1EJPiS1_S1_jEEvDpT3_,"axG",@progbits,_Z6kernelI26subtract_left_partial_tileLj256ELj1ELb1EJPiS1_S1_jEEvDpT3_,comdat
.Lfunc_end150:
	.size	_Z6kernelI26subtract_left_partial_tileLj256ELj1ELb1EJPiS1_S1_jEEvDpT3_, .Lfunc_end150-_Z6kernelI26subtract_left_partial_tileLj256ELj1ELb1EJPiS1_S1_jEEvDpT3_
                                        ; -- End function
	.section	.AMDGPU.csdata,"",@progbits
; Kernel info:
; codeLenInByte = 328
; NumSgprs: 20
; NumVgprs: 5
; NumAgprs: 0
; TotalNumVgprs: 5
; ScratchSize: 0
; MemoryBound: 0
; FloatMode: 240
; IeeeMode: 1
; LDSByteSize: 2048 bytes/workgroup (compile time only)
; SGPRBlocks: 2
; VGPRBlocks: 0
; NumSGPRsForWavesPerEU: 20
; NumVGPRsForWavesPerEU: 5
; AccumOffset: 8
; Occupancy: 8
; WaveLimiterHint : 0
; COMPUTE_PGM_RSRC2:SCRATCH_EN: 0
; COMPUTE_PGM_RSRC2:USER_SGPR: 6
; COMPUTE_PGM_RSRC2:TRAP_HANDLER: 0
; COMPUTE_PGM_RSRC2:TGID_X_EN: 1
; COMPUTE_PGM_RSRC2:TGID_Y_EN: 0
; COMPUTE_PGM_RSRC2:TGID_Z_EN: 0
; COMPUTE_PGM_RSRC2:TIDIG_COMP_CNT: 0
; COMPUTE_PGM_RSRC3_GFX90A:ACCUM_OFFSET: 1
; COMPUTE_PGM_RSRC3_GFX90A:TG_SPLIT: 0
	.section	.text._Z6kernelI26subtract_left_partial_tileLj256ELj3ELb1EJPiS1_S1_jEEvDpT3_,"axG",@progbits,_Z6kernelI26subtract_left_partial_tileLj256ELj3ELb1EJPiS1_S1_jEEvDpT3_,comdat
	.protected	_Z6kernelI26subtract_left_partial_tileLj256ELj3ELb1EJPiS1_S1_jEEvDpT3_ ; -- Begin function _Z6kernelI26subtract_left_partial_tileLj256ELj3ELb1EJPiS1_S1_jEEvDpT3_
	.globl	_Z6kernelI26subtract_left_partial_tileLj256ELj3ELb1EJPiS1_S1_jEEvDpT3_
	.p2align	8
	.type	_Z6kernelI26subtract_left_partial_tileLj256ELj3ELb1EJPiS1_S1_jEEvDpT3_,@function
_Z6kernelI26subtract_left_partial_tileLj256ELj3ELb1EJPiS1_S1_jEEvDpT3_: ; @_Z6kernelI26subtract_left_partial_tileLj256ELj3ELb1EJPiS1_S1_jEEvDpT3_
; %bb.0:
	s_load_dwordx4 s[12:15], s[4:5], 0x0
	s_load_dwordx2 s[2:3], s[4:5], 0x10
	s_mul_i32 s0, s6, 0x300
	s_mov_b32 s1, 0
	s_lshl_b64 s[8:9], s[0:1], 2
	s_waitcnt lgkmcnt(0)
	s_add_u32 s10, s12, s8
	s_addc_u32 s11, s13, s9
	v_lshlrev_b32_e32 v4, 2, v0
	global_load_dword v1, v4, s[10:11]
	global_load_dword v2, v4, s[10:11] offset:1024
	global_load_dword v3, v4, s[10:11] offset:2048
	s_load_dword s10, s[4:5], 0x18
	s_mov_b32 s7, s1
	s_lshl_b64 s[0:1], s[6:7], 2
	s_add_u32 s0, s14, s0
	s_addc_u32 s1, s15, s1
	s_waitcnt lgkmcnt(0)
	v_cvt_f32_u32_e32 v5, s10
	s_load_dword s4, s[0:1], 0x0
	s_sub_i32 s0, 0, s10
	v_mad_u32_u24 v6, v0, 3, 2
	v_rcp_iflag_f32_e32 v5, v5
	v_mad_u32_u24 v7, v0, 3, 1
	v_cmp_ne_u32_e32 vcc, 0, v0
	v_add_u32_e32 v8, -4, v4
	v_mul_f32_e32 v5, 0x4f7ffffe, v5
	v_cvt_u32_f32_e32 v5, v5
	v_readfirstlane_b32 s1, v5
	s_mul_i32 s0, s0, s1
	s_mul_hi_u32 s0, s1, s0
	s_add_i32 s1, s1, s0
	s_mul_hi_u32 s0, s1, 0x300
	s_mul_i32 s1, s0, s10
	s_sub_i32 s1, 0x300, s1
	s_add_i32 s5, s0, 1
	s_sub_i32 s6, s1, s10
	s_cmp_ge_u32 s1, s10
	s_cselect_b32 s0, s5, s0
	s_cselect_b32 s1, s6, s1
	s_add_i32 s5, s0, 1
	s_cmp_ge_u32 s1, s10
	s_cselect_b32 s5, s5, s0
	s_add_i32 s5, s5, 1
	v_mul_u32_u24_e32 v5, 3, v0
	s_max_u32 s6, s10, 1
	s_branch .LBB151_2
.LBB151_1:                              ;   in Loop: Header=BB151_2 Depth=1
	s_or_b64 exec, exec, s[0:1]
	v_sub_u32_e32 v10, v3, v2
	v_cmp_gt_u32_e64 s[0:1], s4, v6
	v_cndmask_b32_e64 v10, v3, v10, s[0:1]
	v_sub_u32_e32 v11, v2, v1
	v_cmp_gt_u32_e64 s[0:1], s4, v7
	v_cndmask_b32_e64 v11, v2, v11, s[0:1]
	v_cmp_gt_u32_e64 s[0:1], s4, v5
	s_waitcnt lgkmcnt(0)
	v_cndmask_b32_e64 v9, 0, v9, s[0:1]
	s_add_i32 s0, s5, s4
	s_mul_hi_u32 s1, s0, 0xaaaaaaab
	s_lshr_b32 s1, s1, 9
	s_mulk_i32 s1, 0x300
	v_sub_u32_e32 v9, v1, v9
	s_sub_i32 s4, s0, s1
	s_add_i32 s6, s6, -1
	v_add_u32_e32 v1, v9, v1
	v_add_u32_e32 v2, v11, v2
	;; [unrolled: 1-line block ×3, first 2 shown]
	s_cmp_lg_u32 s6, 0
	s_barrier
	s_cbranch_scc0 .LBB151_4
.LBB151_2:                              ; =>This Inner Loop Header: Depth=1
	v_mov_b32_e32 v9, 0x7b
	s_waitcnt vmcnt(0)
	ds_write_b32 v4, v3
	s_waitcnt lgkmcnt(0)
	s_barrier
	s_and_saveexec_b64 s[0:1], vcc
	s_cbranch_execz .LBB151_1
; %bb.3:                                ;   in Loop: Header=BB151_2 Depth=1
	ds_read_b32 v9, v8
	s_branch .LBB151_1
.LBB151_4:
	s_add_u32 s0, s2, s8
	s_addc_u32 s1, s3, s9
	v_lshlrev_b32_e32 v0, 2, v0
	global_store_dword v0, v1, s[0:1]
	global_store_dword v0, v2, s[0:1] offset:1024
	global_store_dword v0, v3, s[0:1] offset:2048
	s_endpgm
	.section	.rodata,"a",@progbits
	.p2align	6, 0x0
	.amdhsa_kernel _Z6kernelI26subtract_left_partial_tileLj256ELj3ELb1EJPiS1_S1_jEEvDpT3_
		.amdhsa_group_segment_fixed_size 2048
		.amdhsa_private_segment_fixed_size 0
		.amdhsa_kernarg_size 28
		.amdhsa_user_sgpr_count 6
		.amdhsa_user_sgpr_private_segment_buffer 1
		.amdhsa_user_sgpr_dispatch_ptr 0
		.amdhsa_user_sgpr_queue_ptr 0
		.amdhsa_user_sgpr_kernarg_segment_ptr 1
		.amdhsa_user_sgpr_dispatch_id 0
		.amdhsa_user_sgpr_flat_scratch_init 0
		.amdhsa_user_sgpr_kernarg_preload_length 0
		.amdhsa_user_sgpr_kernarg_preload_offset 0
		.amdhsa_user_sgpr_private_segment_size 0
		.amdhsa_uses_dynamic_stack 0
		.amdhsa_system_sgpr_private_segment_wavefront_offset 0
		.amdhsa_system_sgpr_workgroup_id_x 1
		.amdhsa_system_sgpr_workgroup_id_y 0
		.amdhsa_system_sgpr_workgroup_id_z 0
		.amdhsa_system_sgpr_workgroup_info 0
		.amdhsa_system_vgpr_workitem_id 0
		.amdhsa_next_free_vgpr 12
		.amdhsa_next_free_sgpr 16
		.amdhsa_accum_offset 12
		.amdhsa_reserve_vcc 1
		.amdhsa_reserve_flat_scratch 0
		.amdhsa_float_round_mode_32 0
		.amdhsa_float_round_mode_16_64 0
		.amdhsa_float_denorm_mode_32 3
		.amdhsa_float_denorm_mode_16_64 3
		.amdhsa_dx10_clamp 1
		.amdhsa_ieee_mode 1
		.amdhsa_fp16_overflow 0
		.amdhsa_tg_split 0
		.amdhsa_exception_fp_ieee_invalid_op 0
		.amdhsa_exception_fp_denorm_src 0
		.amdhsa_exception_fp_ieee_div_zero 0
		.amdhsa_exception_fp_ieee_overflow 0
		.amdhsa_exception_fp_ieee_underflow 0
		.amdhsa_exception_fp_ieee_inexact 0
		.amdhsa_exception_int_div_zero 0
	.end_amdhsa_kernel
	.section	.text._Z6kernelI26subtract_left_partial_tileLj256ELj3ELb1EJPiS1_S1_jEEvDpT3_,"axG",@progbits,_Z6kernelI26subtract_left_partial_tileLj256ELj3ELb1EJPiS1_S1_jEEvDpT3_,comdat
.Lfunc_end151:
	.size	_Z6kernelI26subtract_left_partial_tileLj256ELj3ELb1EJPiS1_S1_jEEvDpT3_, .Lfunc_end151-_Z6kernelI26subtract_left_partial_tileLj256ELj3ELb1EJPiS1_S1_jEEvDpT3_
                                        ; -- End function
	.section	.AMDGPU.csdata,"",@progbits
; Kernel info:
; codeLenInByte = 448
; NumSgprs: 20
; NumVgprs: 12
; NumAgprs: 0
; TotalNumVgprs: 12
; ScratchSize: 0
; MemoryBound: 0
; FloatMode: 240
; IeeeMode: 1
; LDSByteSize: 2048 bytes/workgroup (compile time only)
; SGPRBlocks: 2
; VGPRBlocks: 1
; NumSGPRsForWavesPerEU: 20
; NumVGPRsForWavesPerEU: 12
; AccumOffset: 12
; Occupancy: 8
; WaveLimiterHint : 1
; COMPUTE_PGM_RSRC2:SCRATCH_EN: 0
; COMPUTE_PGM_RSRC2:USER_SGPR: 6
; COMPUTE_PGM_RSRC2:TRAP_HANDLER: 0
; COMPUTE_PGM_RSRC2:TGID_X_EN: 1
; COMPUTE_PGM_RSRC2:TGID_Y_EN: 0
; COMPUTE_PGM_RSRC2:TGID_Z_EN: 0
; COMPUTE_PGM_RSRC2:TIDIG_COMP_CNT: 0
; COMPUTE_PGM_RSRC3_GFX90A:ACCUM_OFFSET: 2
; COMPUTE_PGM_RSRC3_GFX90A:TG_SPLIT: 0
	.section	.text._Z6kernelI26subtract_left_partial_tileLj256ELj4ELb1EJPiS1_S1_jEEvDpT3_,"axG",@progbits,_Z6kernelI26subtract_left_partial_tileLj256ELj4ELb1EJPiS1_S1_jEEvDpT3_,comdat
	.protected	_Z6kernelI26subtract_left_partial_tileLj256ELj4ELb1EJPiS1_S1_jEEvDpT3_ ; -- Begin function _Z6kernelI26subtract_left_partial_tileLj256ELj4ELb1EJPiS1_S1_jEEvDpT3_
	.globl	_Z6kernelI26subtract_left_partial_tileLj256ELj4ELb1EJPiS1_S1_jEEvDpT3_
	.p2align	8
	.type	_Z6kernelI26subtract_left_partial_tileLj256ELj4ELb1EJPiS1_S1_jEEvDpT3_,@function
_Z6kernelI26subtract_left_partial_tileLj256ELj4ELb1EJPiS1_S1_jEEvDpT3_: ; @_Z6kernelI26subtract_left_partial_tileLj256ELj4ELb1EJPiS1_S1_jEEvDpT3_
; %bb.0:
	s_load_dwordx4 s[12:15], s[4:5], 0x0
	s_load_dwordx2 s[2:3], s[4:5], 0x10
	s_lshl_b32 s0, s6, 10
	s_mov_b32 s1, 0
	s_lshl_b64 s[8:9], s[0:1], 2
	s_waitcnt lgkmcnt(0)
	s_add_u32 s10, s12, s8
	s_addc_u32 s11, s13, s9
	v_lshlrev_b32_e32 v5, 2, v0
	global_load_dword v1, v5, s[10:11]
	global_load_dword v2, v5, s[10:11] offset:1024
	global_load_dword v3, v5, s[10:11] offset:2048
	;; [unrolled: 1-line block ×3, first 2 shown]
	s_load_dword s10, s[4:5], 0x18
	s_mov_b32 s7, s1
	s_lshl_b64 s[0:1], s[6:7], 2
	s_add_u32 s0, s14, s0
	s_addc_u32 s1, s15, s1
	s_waitcnt lgkmcnt(0)
	v_cvt_f32_u32_e32 v6, s10
	s_load_dword s4, s[0:1], 0x0
	s_sub_i32 s0, 0, s10
	v_or_b32_e32 v7, 2, v5
	v_rcp_iflag_f32_e32 v6, v6
	v_or_b32_e32 v8, 1, v5
	v_cmp_ne_u32_e32 vcc, 0, v0
	v_add_u32_e32 v9, -4, v5
	v_mul_f32_e32 v6, 0x4f7ffffe, v6
	v_cvt_u32_f32_e32 v6, v6
	v_readfirstlane_b32 s1, v6
	s_mul_i32 s0, s0, s1
	s_mul_hi_u32 s0, s1, s0
	s_add_i32 s1, s1, s0
	s_lshr_b32 s0, s1, 22
	s_mul_i32 s1, s0, s10
	s_sub_i32 s1, 0x400, s1
	s_add_i32 s5, s0, 1
	s_sub_i32 s6, s1, s10
	s_cmp_ge_u32 s1, s10
	s_cselect_b32 s0, s5, s0
	s_cselect_b32 s1, s6, s1
	s_add_i32 s5, s0, 1
	s_cmp_ge_u32 s1, s10
	s_cselect_b32 s5, s5, s0
	s_add_i32 s5, s5, 1
	v_or_b32_e32 v6, 3, v5
	s_max_u32 s6, s10, 1
	s_branch .LBB152_2
.LBB152_1:                              ;   in Loop: Header=BB152_2 Depth=1
	s_or_b64 exec, exec, s[0:1]
	v_sub_u32_e32 v11, v4, v3
	v_cmp_gt_u32_e64 s[0:1], s4, v6
	v_cndmask_b32_e64 v11, v4, v11, s[0:1]
	v_sub_u32_e32 v12, v3, v2
	v_cmp_gt_u32_e64 s[0:1], s4, v7
	v_cndmask_b32_e64 v12, v3, v12, s[0:1]
	;; [unrolled: 3-line block ×3, first 2 shown]
	v_cmp_gt_u32_e64 s[0:1], s4, v5
	s_waitcnt lgkmcnt(0)
	v_cndmask_b32_e64 v10, 0, v10, s[0:1]
	s_add_i32 s0, s5, s4
	v_sub_u32_e32 v10, v1, v10
	s_and_b32 s4, s0, 0x3ff
	s_add_i32 s6, s6, -1
	v_add_u32_e32 v1, v10, v1
	v_add_u32_e32 v2, v13, v2
	;; [unrolled: 1-line block ×4, first 2 shown]
	s_cmp_lg_u32 s6, 0
	s_barrier
	s_cbranch_scc0 .LBB152_4
.LBB152_2:                              ; =>This Inner Loop Header: Depth=1
	v_mov_b32_e32 v10, 0x7b
	s_waitcnt vmcnt(0)
	ds_write_b32 v5, v4
	s_waitcnt lgkmcnt(0)
	s_barrier
	s_and_saveexec_b64 s[0:1], vcc
	s_cbranch_execz .LBB152_1
; %bb.3:                                ;   in Loop: Header=BB152_2 Depth=1
	ds_read_b32 v10, v9
	s_branch .LBB152_1
.LBB152_4:
	s_add_u32 s0, s2, s8
	s_addc_u32 s1, s3, s9
	v_lshlrev_b32_e32 v0, 2, v0
	global_store_dword v0, v1, s[0:1]
	global_store_dword v0, v2, s[0:1] offset:1024
	global_store_dword v0, v3, s[0:1] offset:2048
	global_store_dword v0, v4, s[0:1] offset:3072
	s_endpgm
	.section	.rodata,"a",@progbits
	.p2align	6, 0x0
	.amdhsa_kernel _Z6kernelI26subtract_left_partial_tileLj256ELj4ELb1EJPiS1_S1_jEEvDpT3_
		.amdhsa_group_segment_fixed_size 2048
		.amdhsa_private_segment_fixed_size 0
		.amdhsa_kernarg_size 28
		.amdhsa_user_sgpr_count 6
		.amdhsa_user_sgpr_private_segment_buffer 1
		.amdhsa_user_sgpr_dispatch_ptr 0
		.amdhsa_user_sgpr_queue_ptr 0
		.amdhsa_user_sgpr_kernarg_segment_ptr 1
		.amdhsa_user_sgpr_dispatch_id 0
		.amdhsa_user_sgpr_flat_scratch_init 0
		.amdhsa_user_sgpr_kernarg_preload_length 0
		.amdhsa_user_sgpr_kernarg_preload_offset 0
		.amdhsa_user_sgpr_private_segment_size 0
		.amdhsa_uses_dynamic_stack 0
		.amdhsa_system_sgpr_private_segment_wavefront_offset 0
		.amdhsa_system_sgpr_workgroup_id_x 1
		.amdhsa_system_sgpr_workgroup_id_y 0
		.amdhsa_system_sgpr_workgroup_id_z 0
		.amdhsa_system_sgpr_workgroup_info 0
		.amdhsa_system_vgpr_workitem_id 0
		.amdhsa_next_free_vgpr 14
		.amdhsa_next_free_sgpr 16
		.amdhsa_accum_offset 16
		.amdhsa_reserve_vcc 1
		.amdhsa_reserve_flat_scratch 0
		.amdhsa_float_round_mode_32 0
		.amdhsa_float_round_mode_16_64 0
		.amdhsa_float_denorm_mode_32 3
		.amdhsa_float_denorm_mode_16_64 3
		.amdhsa_dx10_clamp 1
		.amdhsa_ieee_mode 1
		.amdhsa_fp16_overflow 0
		.amdhsa_tg_split 0
		.amdhsa_exception_fp_ieee_invalid_op 0
		.amdhsa_exception_fp_denorm_src 0
		.amdhsa_exception_fp_ieee_div_zero 0
		.amdhsa_exception_fp_ieee_overflow 0
		.amdhsa_exception_fp_ieee_underflow 0
		.amdhsa_exception_fp_ieee_inexact 0
		.amdhsa_exception_int_div_zero 0
	.end_amdhsa_kernel
	.section	.text._Z6kernelI26subtract_left_partial_tileLj256ELj4ELb1EJPiS1_S1_jEEvDpT3_,"axG",@progbits,_Z6kernelI26subtract_left_partial_tileLj256ELj4ELb1EJPiS1_S1_jEEvDpT3_,comdat
.Lfunc_end152:
	.size	_Z6kernelI26subtract_left_partial_tileLj256ELj4ELb1EJPiS1_S1_jEEvDpT3_, .Lfunc_end152-_Z6kernelI26subtract_left_partial_tileLj256ELj4ELb1EJPiS1_S1_jEEvDpT3_
                                        ; -- End function
	.section	.AMDGPU.csdata,"",@progbits
; Kernel info:
; codeLenInByte = 460
; NumSgprs: 20
; NumVgprs: 14
; NumAgprs: 0
; TotalNumVgprs: 14
; ScratchSize: 0
; MemoryBound: 0
; FloatMode: 240
; IeeeMode: 1
; LDSByteSize: 2048 bytes/workgroup (compile time only)
; SGPRBlocks: 2
; VGPRBlocks: 1
; NumSGPRsForWavesPerEU: 20
; NumVGPRsForWavesPerEU: 14
; AccumOffset: 16
; Occupancy: 8
; WaveLimiterHint : 1
; COMPUTE_PGM_RSRC2:SCRATCH_EN: 0
; COMPUTE_PGM_RSRC2:USER_SGPR: 6
; COMPUTE_PGM_RSRC2:TRAP_HANDLER: 0
; COMPUTE_PGM_RSRC2:TGID_X_EN: 1
; COMPUTE_PGM_RSRC2:TGID_Y_EN: 0
; COMPUTE_PGM_RSRC2:TGID_Z_EN: 0
; COMPUTE_PGM_RSRC2:TIDIG_COMP_CNT: 0
; COMPUTE_PGM_RSRC3_GFX90A:ACCUM_OFFSET: 3
; COMPUTE_PGM_RSRC3_GFX90A:TG_SPLIT: 0
	.section	.text._Z6kernelI26subtract_left_partial_tileLj256ELj8ELb1EJPiS1_S1_jEEvDpT3_,"axG",@progbits,_Z6kernelI26subtract_left_partial_tileLj256ELj8ELb1EJPiS1_S1_jEEvDpT3_,comdat
	.protected	_Z6kernelI26subtract_left_partial_tileLj256ELj8ELb1EJPiS1_S1_jEEvDpT3_ ; -- Begin function _Z6kernelI26subtract_left_partial_tileLj256ELj8ELb1EJPiS1_S1_jEEvDpT3_
	.globl	_Z6kernelI26subtract_left_partial_tileLj256ELj8ELb1EJPiS1_S1_jEEvDpT3_
	.p2align	8
	.type	_Z6kernelI26subtract_left_partial_tileLj256ELj8ELb1EJPiS1_S1_jEEvDpT3_,@function
_Z6kernelI26subtract_left_partial_tileLj256ELj8ELb1EJPiS1_S1_jEEvDpT3_: ; @_Z6kernelI26subtract_left_partial_tileLj256ELj8ELb1EJPiS1_S1_jEEvDpT3_
; %bb.0:
	s_load_dwordx4 s[0:3], s[4:5], 0x0
	s_load_dwordx2 s[8:9], s[4:5], 0x10
	s_lshl_b32 s12, s6, 11
	s_mov_b32 s13, 0
	s_lshl_b64 s[10:11], s[12:13], 2
	s_waitcnt lgkmcnt(0)
	s_add_u32 s0, s0, s10
	s_addc_u32 s1, s1, s11
	v_lshlrev_b32_e32 v9, 2, v0
	v_mov_b32_e32 v1, s1
	v_add_co_u32_e32 v5, vcc, s0, v9
	v_addc_co_u32_e32 v6, vcc, 0, v1, vcc
	global_load_dword v1, v9, s[0:1]
	global_load_dword v2, v9, s[0:1] offset:1024
	global_load_dword v3, v9, s[0:1] offset:2048
	;; [unrolled: 1-line block ×3, first 2 shown]
	s_movk_i32 s0, 0x1000
	v_add_co_u32_e32 v10, vcc, s0, v5
	v_addc_co_u32_e32 v11, vcc, 0, v6, vcc
	global_load_dword v5, v[10:11], off
	global_load_dword v6, v[10:11], off offset:1024
	global_load_dword v7, v[10:11], off offset:2048
	global_load_dword v8, v[10:11], off offset:3072
	s_load_dword s4, s[4:5], 0x18
	s_mov_b32 s7, s13
	s_lshl_b64 s[0:1], s[6:7], 2
	s_add_u32 s0, s2, s0
	s_addc_u32 s1, s3, s1
	s_waitcnt lgkmcnt(0)
	v_cvt_f32_u32_e32 v10, s4
	s_load_dword s2, s[0:1], 0x0
	s_sub_i32 s0, 0, s4
	v_cmp_ne_u32_e32 vcc, 0, v0
	v_rcp_iflag_f32_e32 v10, v10
	v_add_u32_e32 v18, -4, v9
	v_mul_f32_e32 v10, 0x4f7ffffe, v10
	v_cvt_u32_f32_e32 v10, v10
	v_readfirstlane_b32 s1, v10
	s_mul_i32 s0, s0, s1
	s_mul_hi_u32 s0, s1, s0
	s_add_i32 s1, s1, s0
	s_lshr_b32 s0, s1, 21
	s_mul_i32 s1, s0, s4
	s_sub_i32 s1, 0x800, s1
	s_add_i32 s3, s0, 1
	s_sub_i32 s5, s1, s4
	s_cmp_ge_u32 s1, s4
	s_cselect_b32 s0, s3, s0
	s_cselect_b32 s1, s5, s1
	s_add_i32 s3, s0, 1
	s_cmp_ge_u32 s1, s4
	s_cselect_b32 s3, s3, s0
	v_lshlrev_b32_e32 v10, 3, v0
	s_add_i32 s3, s3, 1
	v_or_b32_e32 v11, 7, v10
	v_or_b32_e32 v12, 6, v10
	;; [unrolled: 1-line block ×7, first 2 shown]
	s_max_u32 s4, s4, 1
	s_branch .LBB153_2
.LBB153_1:                              ;   in Loop: Header=BB153_2 Depth=1
	s_or_b64 exec, exec, s[0:1]
	v_cmp_gt_u32_e64 s[0:1], s2, v11
	v_cndmask_b32_e64 v20, 0, v7, s[0:1]
	v_cmp_gt_u32_e64 s[0:1], s2, v12
	v_cndmask_b32_e64 v21, 0, v6, s[0:1]
	;; [unrolled: 2-line block ×7, first 2 shown]
	v_cmp_gt_u32_e64 s[0:1], s2, v10
	s_waitcnt lgkmcnt(0)
	v_cndmask_b32_e64 v19, 0, v19, s[0:1]
	s_add_i32 s0, s3, s2
	v_sub_u32_e32 v20, v8, v20
	v_sub_u32_e32 v21, v7, v21
	;; [unrolled: 1-line block ×8, first 2 shown]
	s_and_b32 s2, s0, 0x7ff
	s_add_i32 s4, s4, -1
	v_add_u32_e32 v1, v19, v1
	v_add_u32_e32 v2, v26, v2
	;; [unrolled: 1-line block ×8, first 2 shown]
	s_cmp_lg_u32 s4, 0
	s_barrier
	s_cbranch_scc0 .LBB153_4
.LBB153_2:                              ; =>This Inner Loop Header: Depth=1
	v_mov_b32_e32 v19, 0x7b
	s_waitcnt vmcnt(0)
	ds_write_b32 v9, v8
	s_waitcnt lgkmcnt(0)
	s_barrier
	s_and_saveexec_b64 s[0:1], vcc
	s_cbranch_execz .LBB153_1
; %bb.3:                                ;   in Loop: Header=BB153_2 Depth=1
	ds_read_b32 v19, v18
	s_branch .LBB153_1
.LBB153_4:
	s_add_u32 s0, s8, s10
	s_addc_u32 s1, s9, s11
	v_lshlrev_b32_e32 v0, 2, v0
	v_mov_b32_e32 v9, s1
	v_add_co_u32_e32 v10, vcc, s0, v0
	v_addc_co_u32_e32 v9, vcc, 0, v9, vcc
	global_store_dword v0, v1, s[0:1]
	global_store_dword v0, v2, s[0:1] offset:1024
	global_store_dword v0, v3, s[0:1] offset:2048
	;; [unrolled: 1-line block ×3, first 2 shown]
	v_add_co_u32_e32 v0, vcc, 0x1000, v10
	v_addc_co_u32_e32 v1, vcc, 0, v9, vcc
	global_store_dword v[0:1], v5, off
	global_store_dword v[0:1], v6, off offset:1024
	global_store_dword v[0:1], v7, off offset:2048
	;; [unrolled: 1-line block ×3, first 2 shown]
	s_endpgm
	.section	.rodata,"a",@progbits
	.p2align	6, 0x0
	.amdhsa_kernel _Z6kernelI26subtract_left_partial_tileLj256ELj8ELb1EJPiS1_S1_jEEvDpT3_
		.amdhsa_group_segment_fixed_size 2048
		.amdhsa_private_segment_fixed_size 0
		.amdhsa_kernarg_size 28
		.amdhsa_user_sgpr_count 6
		.amdhsa_user_sgpr_private_segment_buffer 1
		.amdhsa_user_sgpr_dispatch_ptr 0
		.amdhsa_user_sgpr_queue_ptr 0
		.amdhsa_user_sgpr_kernarg_segment_ptr 1
		.amdhsa_user_sgpr_dispatch_id 0
		.amdhsa_user_sgpr_flat_scratch_init 0
		.amdhsa_user_sgpr_kernarg_preload_length 0
		.amdhsa_user_sgpr_kernarg_preload_offset 0
		.amdhsa_user_sgpr_private_segment_size 0
		.amdhsa_uses_dynamic_stack 0
		.amdhsa_system_sgpr_private_segment_wavefront_offset 0
		.amdhsa_system_sgpr_workgroup_id_x 1
		.amdhsa_system_sgpr_workgroup_id_y 0
		.amdhsa_system_sgpr_workgroup_id_z 0
		.amdhsa_system_sgpr_workgroup_info 0
		.amdhsa_system_vgpr_workitem_id 0
		.amdhsa_next_free_vgpr 27
		.amdhsa_next_free_sgpr 14
		.amdhsa_accum_offset 28
		.amdhsa_reserve_vcc 1
		.amdhsa_reserve_flat_scratch 0
		.amdhsa_float_round_mode_32 0
		.amdhsa_float_round_mode_16_64 0
		.amdhsa_float_denorm_mode_32 3
		.amdhsa_float_denorm_mode_16_64 3
		.amdhsa_dx10_clamp 1
		.amdhsa_ieee_mode 1
		.amdhsa_fp16_overflow 0
		.amdhsa_tg_split 0
		.amdhsa_exception_fp_ieee_invalid_op 0
		.amdhsa_exception_fp_denorm_src 0
		.amdhsa_exception_fp_ieee_div_zero 0
		.amdhsa_exception_fp_ieee_overflow 0
		.amdhsa_exception_fp_ieee_underflow 0
		.amdhsa_exception_fp_ieee_inexact 0
		.amdhsa_exception_int_div_zero 0
	.end_amdhsa_kernel
	.section	.text._Z6kernelI26subtract_left_partial_tileLj256ELj8ELb1EJPiS1_S1_jEEvDpT3_,"axG",@progbits,_Z6kernelI26subtract_left_partial_tileLj256ELj8ELb1EJPiS1_S1_jEEvDpT3_,comdat
.Lfunc_end153:
	.size	_Z6kernelI26subtract_left_partial_tileLj256ELj8ELb1EJPiS1_S1_jEEvDpT3_, .Lfunc_end153-_Z6kernelI26subtract_left_partial_tileLj256ELj8ELb1EJPiS1_S1_jEEvDpT3_
                                        ; -- End function
	.section	.AMDGPU.csdata,"",@progbits
; Kernel info:
; codeLenInByte = 688
; NumSgprs: 18
; NumVgprs: 27
; NumAgprs: 0
; TotalNumVgprs: 27
; ScratchSize: 0
; MemoryBound: 0
; FloatMode: 240
; IeeeMode: 1
; LDSByteSize: 2048 bytes/workgroup (compile time only)
; SGPRBlocks: 2
; VGPRBlocks: 3
; NumSGPRsForWavesPerEU: 18
; NumVGPRsForWavesPerEU: 27
; AccumOffset: 28
; Occupancy: 8
; WaveLimiterHint : 1
; COMPUTE_PGM_RSRC2:SCRATCH_EN: 0
; COMPUTE_PGM_RSRC2:USER_SGPR: 6
; COMPUTE_PGM_RSRC2:TRAP_HANDLER: 0
; COMPUTE_PGM_RSRC2:TGID_X_EN: 1
; COMPUTE_PGM_RSRC2:TGID_Y_EN: 0
; COMPUTE_PGM_RSRC2:TGID_Z_EN: 0
; COMPUTE_PGM_RSRC2:TIDIG_COMP_CNT: 0
; COMPUTE_PGM_RSRC3_GFX90A:ACCUM_OFFSET: 6
; COMPUTE_PGM_RSRC3_GFX90A:TG_SPLIT: 0
	.section	.text._Z6kernelI26subtract_left_partial_tileLj256ELj16ELb1EJPiS1_S1_jEEvDpT3_,"axG",@progbits,_Z6kernelI26subtract_left_partial_tileLj256ELj16ELb1EJPiS1_S1_jEEvDpT3_,comdat
	.protected	_Z6kernelI26subtract_left_partial_tileLj256ELj16ELb1EJPiS1_S1_jEEvDpT3_ ; -- Begin function _Z6kernelI26subtract_left_partial_tileLj256ELj16ELb1EJPiS1_S1_jEEvDpT3_
	.globl	_Z6kernelI26subtract_left_partial_tileLj256ELj16ELb1EJPiS1_S1_jEEvDpT3_
	.p2align	8
	.type	_Z6kernelI26subtract_left_partial_tileLj256ELj16ELb1EJPiS1_S1_jEEvDpT3_,@function
_Z6kernelI26subtract_left_partial_tileLj256ELj16ELb1EJPiS1_S1_jEEvDpT3_: ; @_Z6kernelI26subtract_left_partial_tileLj256ELj16ELb1EJPiS1_S1_jEEvDpT3_
; %bb.0:
	s_load_dwordx4 s[0:3], s[4:5], 0x0
	s_load_dwordx2 s[8:9], s[4:5], 0x10
	s_lshl_b32 s12, s6, 12
	s_mov_b32 s13, 0
	s_lshl_b64 s[10:11], s[12:13], 2
	s_waitcnt lgkmcnt(0)
	s_add_u32 s0, s0, s10
	s_addc_u32 s1, s1, s11
	v_lshlrev_b32_e32 v13, 2, v0
	v_mov_b32_e32 v1, s1
	v_add_co_u32_e32 v9, vcc, s0, v13
	v_addc_co_u32_e32 v12, vcc, 0, v1, vcc
	global_load_dword v4, v13, s[0:1]
	global_load_dword v3, v13, s[0:1] offset:1024
	global_load_dword v2, v13, s[0:1] offset:2048
	global_load_dword v1, v13, s[0:1] offset:3072
	s_movk_i32 s0, 0x1000
	v_add_co_u32_e32 v18, vcc, s0, v9
	v_addc_co_u32_e32 v19, vcc, 0, v12, vcc
	s_movk_i32 s0, 0x2000
	v_add_co_u32_e32 v10, vcc, s0, v9
	v_addc_co_u32_e32 v11, vcc, 0, v12, vcc
	s_movk_i32 s0, 0x3000
	v_add_co_u32_e32 v20, vcc, s0, v9
	global_load_dword v14, v[10:11], off offset:-4096
	global_load_dword v8, v[10:11], off
	global_load_dword v7, v[10:11], off offset:1024
	global_load_dword v6, v[10:11], off offset:2048
	;; [unrolled: 1-line block ×3, first 2 shown]
	v_addc_co_u32_e32 v21, vcc, 0, v12, vcc
	global_load_dword v17, v[18:19], off offset:1024
	global_load_dword v16, v[18:19], off offset:2048
	;; [unrolled: 1-line block ×3, first 2 shown]
	global_load_dword v11, v[20:21], off
	global_load_dword v10, v[20:21], off offset:1024
	global_load_dword v9, v[20:21], off offset:2048
	;; [unrolled: 1-line block ×3, first 2 shown]
	s_load_dword s4, s[4:5], 0x18
	s_mov_b32 s7, s13
	s_lshl_b64 s[0:1], s[6:7], 2
	s_add_u32 s0, s2, s0
	s_addc_u32 s1, s3, s1
	s_waitcnt lgkmcnt(0)
	v_cvt_f32_u32_e32 v18, s4
	s_load_dword s2, s[0:1], 0x0
	s_sub_i32 s0, 0, s4
	v_cmp_ne_u32_e32 vcc, 0, v0
	v_rcp_iflag_f32_e32 v18, v18
	v_add_u32_e32 v34, -4, v13
	v_mul_f32_e32 v18, 0x4f7ffffe, v18
	v_cvt_u32_f32_e32 v18, v18
	v_readfirstlane_b32 s1, v18
	s_mul_i32 s0, s0, s1
	s_mul_hi_u32 s0, s1, s0
	s_add_i32 s1, s1, s0
	s_lshr_b32 s0, s1, 20
	s_mul_i32 s1, s0, s4
	s_sub_i32 s1, 0x1000, s1
	s_add_i32 s3, s0, 1
	s_sub_i32 s5, s1, s4
	s_cmp_ge_u32 s1, s4
	s_cselect_b32 s0, s3, s0
	s_cselect_b32 s1, s5, s1
	s_add_i32 s3, s0, 1
	s_cmp_ge_u32 s1, s4
	s_cselect_b32 s3, s3, s0
	v_lshlrev_b32_e32 v18, 4, v0
	s_add_i32 s3, s3, 1
	v_or_b32_e32 v19, 15, v18
	v_or_b32_e32 v20, 14, v18
	;; [unrolled: 1-line block ×15, first 2 shown]
	s_max_u32 s4, s4, 1
	s_branch .LBB154_2
.LBB154_1:                              ;   in Loop: Header=BB154_2 Depth=1
	s_or_b64 exec, exec, s[0:1]
	v_cmp_gt_u32_e64 s[0:1], s2, v19
	v_cndmask_b32_e64 v36, 0, v9, s[0:1]
	v_cmp_gt_u32_e64 s[0:1], s2, v20
	v_cndmask_b32_e64 v37, 0, v10, s[0:1]
	;; [unrolled: 2-line block ×15, first 2 shown]
	v_cmp_gt_u32_e64 s[0:1], s2, v18
	s_waitcnt lgkmcnt(0)
	v_cndmask_b32_e64 v35, 0, v35, s[0:1]
	s_add_i32 s0, s3, s2
	v_sub_u32_e32 v36, v12, v36
	v_sub_u32_e32 v37, v9, v37
	;; [unrolled: 1-line block ×16, first 2 shown]
	s_and_b32 s2, s0, 0xfff
	s_add_i32 s4, s4, -1
	v_add_u32_e32 v4, v35, v4
	v_add_u32_e32 v3, v50, v3
	;; [unrolled: 1-line block ×16, first 2 shown]
	s_cmp_lg_u32 s4, 0
	s_barrier
	s_cbranch_scc0 .LBB154_4
.LBB154_2:                              ; =>This Inner Loop Header: Depth=1
	v_mov_b32_e32 v35, 0x7b
	s_waitcnt vmcnt(0)
	ds_write_b32 v13, v12
	s_waitcnt lgkmcnt(0)
	s_barrier
	s_and_saveexec_b64 s[0:1], vcc
	s_cbranch_execz .LBB154_1
; %bb.3:                                ;   in Loop: Header=BB154_2 Depth=1
	ds_read_b32 v35, v34
	s_branch .LBB154_1
.LBB154_4:
	s_add_u32 s0, s8, s10
	s_addc_u32 s1, s9, s11
	v_lshlrev_b32_e32 v0, 2, v0
	v_mov_b32_e32 v13, s1
	v_add_co_u32_e32 v18, vcc, s0, v0
	v_addc_co_u32_e32 v13, vcc, 0, v13, vcc
	global_store_dword v0, v4, s[0:1]
	global_store_dword v0, v3, s[0:1] offset:1024
	global_store_dword v0, v2, s[0:1] offset:2048
	;; [unrolled: 1-line block ×3, first 2 shown]
	v_add_co_u32_e32 v0, vcc, 0x1000, v18
	v_addc_co_u32_e32 v1, vcc, 0, v13, vcc
	global_store_dword v[0:1], v14, off
	global_store_dword v[0:1], v17, off offset:1024
	global_store_dword v[0:1], v16, off offset:2048
	global_store_dword v[0:1], v15, off offset:3072
	v_add_co_u32_e32 v0, vcc, 0x2000, v18
	v_addc_co_u32_e32 v1, vcc, 0, v13, vcc
	global_store_dword v[0:1], v8, off
	global_store_dword v[0:1], v7, off offset:1024
	global_store_dword v[0:1], v6, off offset:2048
	global_store_dword v[0:1], v5, off offset:3072
	;; [unrolled: 6-line block ×3, first 2 shown]
	s_endpgm
	.section	.rodata,"a",@progbits
	.p2align	6, 0x0
	.amdhsa_kernel _Z6kernelI26subtract_left_partial_tileLj256ELj16ELb1EJPiS1_S1_jEEvDpT3_
		.amdhsa_group_segment_fixed_size 2048
		.amdhsa_private_segment_fixed_size 0
		.amdhsa_kernarg_size 28
		.amdhsa_user_sgpr_count 6
		.amdhsa_user_sgpr_private_segment_buffer 1
		.amdhsa_user_sgpr_dispatch_ptr 0
		.amdhsa_user_sgpr_queue_ptr 0
		.amdhsa_user_sgpr_kernarg_segment_ptr 1
		.amdhsa_user_sgpr_dispatch_id 0
		.amdhsa_user_sgpr_flat_scratch_init 0
		.amdhsa_user_sgpr_kernarg_preload_length 0
		.amdhsa_user_sgpr_kernarg_preload_offset 0
		.amdhsa_user_sgpr_private_segment_size 0
		.amdhsa_uses_dynamic_stack 0
		.amdhsa_system_sgpr_private_segment_wavefront_offset 0
		.amdhsa_system_sgpr_workgroup_id_x 1
		.amdhsa_system_sgpr_workgroup_id_y 0
		.amdhsa_system_sgpr_workgroup_id_z 0
		.amdhsa_system_sgpr_workgroup_info 0
		.amdhsa_system_vgpr_workitem_id 0
		.amdhsa_next_free_vgpr 51
		.amdhsa_next_free_sgpr 14
		.amdhsa_accum_offset 52
		.amdhsa_reserve_vcc 1
		.amdhsa_reserve_flat_scratch 0
		.amdhsa_float_round_mode_32 0
		.amdhsa_float_round_mode_16_64 0
		.amdhsa_float_denorm_mode_32 3
		.amdhsa_float_denorm_mode_16_64 3
		.amdhsa_dx10_clamp 1
		.amdhsa_ieee_mode 1
		.amdhsa_fp16_overflow 0
		.amdhsa_tg_split 0
		.amdhsa_exception_fp_ieee_invalid_op 0
		.amdhsa_exception_fp_denorm_src 0
		.amdhsa_exception_fp_ieee_div_zero 0
		.amdhsa_exception_fp_ieee_overflow 0
		.amdhsa_exception_fp_ieee_underflow 0
		.amdhsa_exception_fp_ieee_inexact 0
		.amdhsa_exception_int_div_zero 0
	.end_amdhsa_kernel
	.section	.text._Z6kernelI26subtract_left_partial_tileLj256ELj16ELb1EJPiS1_S1_jEEvDpT3_,"axG",@progbits,_Z6kernelI26subtract_left_partial_tileLj256ELj16ELb1EJPiS1_S1_jEEvDpT3_,comdat
.Lfunc_end154:
	.size	_Z6kernelI26subtract_left_partial_tileLj256ELj16ELb1EJPiS1_S1_jEEvDpT3_, .Lfunc_end154-_Z6kernelI26subtract_left_partial_tileLj256ELj16ELb1EJPiS1_S1_jEEvDpT3_
                                        ; -- End function
	.section	.AMDGPU.csdata,"",@progbits
; Kernel info:
; codeLenInByte = 1088
; NumSgprs: 18
; NumVgprs: 51
; NumAgprs: 0
; TotalNumVgprs: 51
; ScratchSize: 0
; MemoryBound: 0
; FloatMode: 240
; IeeeMode: 1
; LDSByteSize: 2048 bytes/workgroup (compile time only)
; SGPRBlocks: 2
; VGPRBlocks: 6
; NumSGPRsForWavesPerEU: 18
; NumVGPRsForWavesPerEU: 51
; AccumOffset: 52
; Occupancy: 8
; WaveLimiterHint : 1
; COMPUTE_PGM_RSRC2:SCRATCH_EN: 0
; COMPUTE_PGM_RSRC2:USER_SGPR: 6
; COMPUTE_PGM_RSRC2:TRAP_HANDLER: 0
; COMPUTE_PGM_RSRC2:TGID_X_EN: 1
; COMPUTE_PGM_RSRC2:TGID_Y_EN: 0
; COMPUTE_PGM_RSRC2:TGID_Z_EN: 0
; COMPUTE_PGM_RSRC2:TIDIG_COMP_CNT: 0
; COMPUTE_PGM_RSRC3_GFX90A:ACCUM_OFFSET: 12
; COMPUTE_PGM_RSRC3_GFX90A:TG_SPLIT: 0
	.section	.text._Z6kernelI26subtract_left_partial_tileLj256ELj32ELb1EJPiS1_S1_jEEvDpT3_,"axG",@progbits,_Z6kernelI26subtract_left_partial_tileLj256ELj32ELb1EJPiS1_S1_jEEvDpT3_,comdat
	.protected	_Z6kernelI26subtract_left_partial_tileLj256ELj32ELb1EJPiS1_S1_jEEvDpT3_ ; -- Begin function _Z6kernelI26subtract_left_partial_tileLj256ELj32ELb1EJPiS1_S1_jEEvDpT3_
	.globl	_Z6kernelI26subtract_left_partial_tileLj256ELj32ELb1EJPiS1_S1_jEEvDpT3_
	.p2align	8
	.type	_Z6kernelI26subtract_left_partial_tileLj256ELj32ELb1EJPiS1_S1_jEEvDpT3_,@function
_Z6kernelI26subtract_left_partial_tileLj256ELj32ELb1EJPiS1_S1_jEEvDpT3_: ; @_Z6kernelI26subtract_left_partial_tileLj256ELj32ELb1EJPiS1_S1_jEEvDpT3_
; %bb.0:
	s_load_dwordx4 s[0:3], s[4:5], 0x0
	s_load_dwordx2 s[10:11], s[4:5], 0x10
	s_lshl_b32 s12, s6, 13
	s_mov_b32 s13, 0
	s_lshl_b64 s[8:9], s[12:13], 2
	s_waitcnt lgkmcnt(0)
	s_add_u32 s0, s0, s8
	s_addc_u32 s1, s1, s9
	v_lshlrev_b32_e32 v26, 2, v0
	v_mov_b32_e32 v1, s1
	v_add_co_u32_e32 v7, vcc, s0, v26
	v_addc_co_u32_e32 v12, vcc, 0, v1, vcc
	global_load_dword v22, v26, s[0:1]
	global_load_dword v21, v26, s[0:1] offset:1024
	global_load_dword v20, v26, s[0:1] offset:2048
	;; [unrolled: 1-line block ×3, first 2 shown]
	s_movk_i32 s0, 0x1000
	v_add_co_u32_e32 v8, vcc, s0, v7
	v_addc_co_u32_e32 v9, vcc, 0, v12, vcc
	s_movk_i32 s0, 0x2000
	v_add_co_u32_e32 v4, vcc, s0, v7
	v_addc_co_u32_e32 v5, vcc, 0, v12, vcc
	;; [unrolled: 3-line block ×5, first 2 shown]
	s_movk_i32 s0, 0x6000
	v_add_co_u32_e32 v40, vcc, s0, v7
	global_load_dword v30, v[4:5], off offset:-4096
	global_load_dword v18, v[4:5], off
	global_load_dword v17, v[4:5], off offset:1024
	global_load_dword v16, v[4:5], off offset:2048
	;; [unrolled: 1-line block ×3, first 2 shown]
	global_load_dword v13, v[36:37], off offset:-4096
	global_load_dword v2, v[36:37], off
	global_load_dword v1, v[36:37], off offset:1024
	v_addc_co_u32_e32 v41, vcc, 0, v12, vcc
	global_load_dword v33, v[8:9], off offset:1024
	global_load_dword v32, v[8:9], off offset:2048
	;; [unrolled: 1-line block ×10, first 2 shown]
	global_load_dword v14, v[40:41], off offset:-4096
	global_load_dword v6, v[40:41], off
	global_load_dword v5, v[40:41], off offset:1024
	global_load_dword v4, v[40:41], off offset:2048
	;; [unrolled: 1-line block ×3, first 2 shown]
	s_movk_i32 s0, 0x7000
	v_add_co_u32_e32 v34, vcc, s0, v7
	v_addc_co_u32_e32 v35, vcc, 0, v12, vcc
	global_load_dword v25, v[38:39], off offset:3072
	global_load_dword v9, v[34:35], off
	global_load_dword v8, v[34:35], off offset:1024
	global_load_dword v7, v[34:35], off offset:2048
	;; [unrolled: 1-line block ×3, first 2 shown]
	s_load_dword s4, s[4:5], 0x18
	s_mov_b32 s7, s13
	s_lshl_b64 s[0:1], s[6:7], 2
	s_add_u32 s0, s2, s0
	s_addc_u32 s1, s3, s1
	s_waitcnt lgkmcnt(0)
	v_cvt_f32_u32_e32 v34, s4
	s_load_dword s2, s[0:1], 0x0
	s_sub_i32 s0, 0, s4
	v_cmp_ne_u32_e32 vcc, 0, v0
	v_rcp_iflag_f32_e32 v34, v34
	v_add_u32_e32 v66, -4, v26
	v_mul_f32_e32 v34, 0x4f7ffffe, v34
	v_cvt_u32_f32_e32 v34, v34
	v_readfirstlane_b32 s1, v34
	s_mul_i32 s0, s0, s1
	s_mul_hi_u32 s0, s1, s0
	s_add_i32 s1, s1, s0
	s_lshr_b32 s0, s1, 19
	s_mul_i32 s1, s0, s4
	s_sub_i32 s1, 0x2000, s1
	s_add_i32 s3, s0, 1
	s_sub_i32 s5, s1, s4
	s_cmp_ge_u32 s1, s4
	s_cselect_b32 s0, s3, s0
	s_cselect_b32 s1, s5, s1
	s_add_i32 s3, s0, 1
	s_cmp_ge_u32 s1, s4
	s_cselect_b32 s3, s3, s0
	v_lshlrev_b32_e32 v34, 5, v0
	s_add_i32 s3, s3, 1
	v_or_b32_e32 v35, 31, v34
	v_or_b32_e32 v36, 30, v34
	;; [unrolled: 1-line block ×17, first 2 shown]
	s_max_u32 s4, s4, 1
	v_or_b32_e32 v52, 14, v34
	v_or_b32_e32 v53, 13, v34
	;; [unrolled: 1-line block ×14, first 2 shown]
	s_branch .LBB155_2
.LBB155_1:                              ;   in Loop: Header=BB155_2 Depth=1
	s_or_b64 exec, exec, s[0:1]
	v_cmp_gt_u32_e64 s[0:1], s2, v35
	v_cndmask_b32_e64 v68, 0, v7, s[0:1]
	v_cmp_gt_u32_e64 s[0:1], s2, v36
	v_cndmask_b32_e64 v69, 0, v8, s[0:1]
	;; [unrolled: 2-line block ×3, first 2 shown]
	v_cmp_gt_u32_e64 s[0:1], s2, v34
	s_waitcnt lgkmcnt(0)
	v_cndmask_b32_e64 v67, 0, v67, s[0:1]
	v_sub_u32_e32 v67, v22, v67
	v_cmp_gt_u32_e64 s[0:1], s2, v64
	v_add_u32_e32 v22, v67, v22
	v_cndmask_b32_e64 v67, 0, v21, s[0:1]
	v_sub_u32_e32 v70, v21, v70
	v_cmp_gt_u32_e64 s[0:1], s2, v63
	v_add_u32_e32 v21, v70, v21
	;; [unrolled: 4-line block ×28, first 2 shown]
	v_cndmask_b32_e64 v70, 0, v9, s[0:1]
	s_add_i32 s0, s3, s2
	v_sub_u32_e32 v68, v12, v68
	v_sub_u32_e32 v69, v7, v69
	;; [unrolled: 1-line block ×4, first 2 shown]
	s_and_b32 s2, s0, 0x1fff
	s_add_i32 s4, s4, -1
	v_add_u32_e32 v9, v67, v9
	v_add_u32_e32 v8, v70, v8
	;; [unrolled: 1-line block ×4, first 2 shown]
	s_cmp_lg_u32 s4, 0
	s_barrier
	s_cbranch_scc0 .LBB155_4
.LBB155_2:                              ; =>This Inner Loop Header: Depth=1
	v_mov_b32_e32 v67, 0x7b
	s_waitcnt vmcnt(0)
	ds_write_b32 v26, v12
	s_waitcnt lgkmcnt(0)
	s_barrier
	s_and_saveexec_b64 s[0:1], vcc
	s_cbranch_execz .LBB155_1
; %bb.3:                                ;   in Loop: Header=BB155_2 Depth=1
	ds_read_b32 v67, v66
	s_branch .LBB155_1
.LBB155_4:
	s_add_u32 s0, s10, s8
	s_addc_u32 s1, s11, s9
	v_lshlrev_b32_e32 v0, 2, v0
	v_mov_b32_e32 v26, s1
	v_add_co_u32_e32 v34, vcc, s0, v0
	v_addc_co_u32_e32 v26, vcc, 0, v26, vcc
	global_store_dword v0, v22, s[0:1]
	global_store_dword v0, v21, s[0:1] offset:1024
	global_store_dword v0, v20, s[0:1] offset:2048
	;; [unrolled: 1-line block ×3, first 2 shown]
	v_add_co_u32_e32 v20, vcc, 0x1000, v34
	v_addc_co_u32_e32 v21, vcc, 0, v26, vcc
	global_store_dword v[20:21], v30, off
	global_store_dword v[20:21], v33, off offset:1024
	global_store_dword v[20:21], v32, off offset:2048
	global_store_dword v[20:21], v31, off offset:3072
	v_add_co_u32_e32 v20, vcc, 0x2000, v34
	v_addc_co_u32_e32 v21, vcc, 0, v26, vcc
	global_store_dword v[20:21], v18, off
	global_store_dword v[20:21], v17, off offset:1024
	global_store_dword v[20:21], v16, off offset:2048
	global_store_dword v[20:21], v15, off offset:3072
	v_add_co_u32_e32 v16, vcc, 0x3000, v34
	v_addc_co_u32_e32 v17, vcc, 0, v26, vcc
	global_store_dword v[16:17], v13, off
	global_store_dword v[16:17], v29, off offset:1024
	global_store_dword v[16:17], v28, off offset:2048
	global_store_dword v[16:17], v27, off offset:3072
	v_add_co_u32_e32 v16, vcc, 0x4000, v34
	v_addc_co_u32_e32 v17, vcc, 0, v26, vcc
	v_add_co_u32_e32 v0, vcc, 0x5000, v34
	global_store_dword v[16:17], v2, off
	global_store_dword v[16:17], v1, off offset:1024
	global_store_dword v[16:17], v24, off offset:2048
	;; [unrolled: 1-line block ×3, first 2 shown]
	v_addc_co_u32_e32 v1, vcc, 0, v26, vcc
	global_store_dword v[0:1], v14, off
	global_store_dword v[0:1], v11, off offset:1024
	global_store_dword v[0:1], v10, off offset:2048
	global_store_dword v[0:1], v25, off offset:3072
	v_add_co_u32_e32 v0, vcc, 0x6000, v34
	v_addc_co_u32_e32 v1, vcc, 0, v26, vcc
	global_store_dword v[0:1], v6, off
	global_store_dword v[0:1], v5, off offset:1024
	global_store_dword v[0:1], v4, off offset:2048
	;; [unrolled: 1-line block ×3, first 2 shown]
	v_add_co_u32_e32 v0, vcc, 0x7000, v34
	v_addc_co_u32_e32 v1, vcc, 0, v26, vcc
	global_store_dword v[0:1], v9, off
	global_store_dword v[0:1], v8, off offset:1024
	global_store_dword v[0:1], v7, off offset:2048
	;; [unrolled: 1-line block ×3, first 2 shown]
	s_endpgm
	.section	.rodata,"a",@progbits
	.p2align	6, 0x0
	.amdhsa_kernel _Z6kernelI26subtract_left_partial_tileLj256ELj32ELb1EJPiS1_S1_jEEvDpT3_
		.amdhsa_group_segment_fixed_size 2048
		.amdhsa_private_segment_fixed_size 0
		.amdhsa_kernarg_size 28
		.amdhsa_user_sgpr_count 6
		.amdhsa_user_sgpr_private_segment_buffer 1
		.amdhsa_user_sgpr_dispatch_ptr 0
		.amdhsa_user_sgpr_queue_ptr 0
		.amdhsa_user_sgpr_kernarg_segment_ptr 1
		.amdhsa_user_sgpr_dispatch_id 0
		.amdhsa_user_sgpr_flat_scratch_init 0
		.amdhsa_user_sgpr_kernarg_preload_length 0
		.amdhsa_user_sgpr_kernarg_preload_offset 0
		.amdhsa_user_sgpr_private_segment_size 0
		.amdhsa_uses_dynamic_stack 0
		.amdhsa_system_sgpr_private_segment_wavefront_offset 0
		.amdhsa_system_sgpr_workgroup_id_x 1
		.amdhsa_system_sgpr_workgroup_id_y 0
		.amdhsa_system_sgpr_workgroup_id_z 0
		.amdhsa_system_sgpr_workgroup_info 0
		.amdhsa_system_vgpr_workitem_id 0
		.amdhsa_next_free_vgpr 71
		.amdhsa_next_free_sgpr 14
		.amdhsa_accum_offset 72
		.amdhsa_reserve_vcc 1
		.amdhsa_reserve_flat_scratch 0
		.amdhsa_float_round_mode_32 0
		.amdhsa_float_round_mode_16_64 0
		.amdhsa_float_denorm_mode_32 3
		.amdhsa_float_denorm_mode_16_64 3
		.amdhsa_dx10_clamp 1
		.amdhsa_ieee_mode 1
		.amdhsa_fp16_overflow 0
		.amdhsa_tg_split 0
		.amdhsa_exception_fp_ieee_invalid_op 0
		.amdhsa_exception_fp_denorm_src 0
		.amdhsa_exception_fp_ieee_div_zero 0
		.amdhsa_exception_fp_ieee_overflow 0
		.amdhsa_exception_fp_ieee_underflow 0
		.amdhsa_exception_fp_ieee_inexact 0
		.amdhsa_exception_int_div_zero 0
	.end_amdhsa_kernel
	.section	.text._Z6kernelI26subtract_left_partial_tileLj256ELj32ELb1EJPiS1_S1_jEEvDpT3_,"axG",@progbits,_Z6kernelI26subtract_left_partial_tileLj256ELj32ELb1EJPiS1_S1_jEEvDpT3_,comdat
.Lfunc_end155:
	.size	_Z6kernelI26subtract_left_partial_tileLj256ELj32ELb1EJPiS1_S1_jEEvDpT3_, .Lfunc_end155-_Z6kernelI26subtract_left_partial_tileLj256ELj32ELb1EJPiS1_S1_jEEvDpT3_
                                        ; -- End function
	.section	.AMDGPU.csdata,"",@progbits
; Kernel info:
; codeLenInByte = 1888
; NumSgprs: 18
; NumVgprs: 71
; NumAgprs: 0
; TotalNumVgprs: 71
; ScratchSize: 0
; MemoryBound: 0
; FloatMode: 240
; IeeeMode: 1
; LDSByteSize: 2048 bytes/workgroup (compile time only)
; SGPRBlocks: 2
; VGPRBlocks: 8
; NumSGPRsForWavesPerEU: 18
; NumVGPRsForWavesPerEU: 71
; AccumOffset: 72
; Occupancy: 7
; WaveLimiterHint : 1
; COMPUTE_PGM_RSRC2:SCRATCH_EN: 0
; COMPUTE_PGM_RSRC2:USER_SGPR: 6
; COMPUTE_PGM_RSRC2:TRAP_HANDLER: 0
; COMPUTE_PGM_RSRC2:TGID_X_EN: 1
; COMPUTE_PGM_RSRC2:TGID_Y_EN: 0
; COMPUTE_PGM_RSRC2:TGID_Z_EN: 0
; COMPUTE_PGM_RSRC2:TIDIG_COMP_CNT: 0
; COMPUTE_PGM_RSRC3_GFX90A:ACCUM_OFFSET: 17
; COMPUTE_PGM_RSRC3_GFX90A:TG_SPLIT: 0
	.section	.text._Z6kernelI26subtract_left_partial_tileLj256ELj1ELb1EJPfPiS1_jEEvDpT3_,"axG",@progbits,_Z6kernelI26subtract_left_partial_tileLj256ELj1ELb1EJPfPiS1_jEEvDpT3_,comdat
	.protected	_Z6kernelI26subtract_left_partial_tileLj256ELj1ELb1EJPfPiS1_jEEvDpT3_ ; -- Begin function _Z6kernelI26subtract_left_partial_tileLj256ELj1ELb1EJPfPiS1_jEEvDpT3_
	.globl	_Z6kernelI26subtract_left_partial_tileLj256ELj1ELb1EJPfPiS1_jEEvDpT3_
	.p2align	8
	.type	_Z6kernelI26subtract_left_partial_tileLj256ELj1ELb1EJPfPiS1_jEEvDpT3_,@function
_Z6kernelI26subtract_left_partial_tileLj256ELj1ELb1EJPfPiS1_jEEvDpT3_: ; @_Z6kernelI26subtract_left_partial_tileLj256ELj1ELb1EJPfPiS1_jEEvDpT3_
; %bb.0:
	s_load_dwordx4 s[12:15], s[4:5], 0x0
	s_load_dwordx2 s[2:3], s[4:5], 0x10
	s_lshl_b32 s0, s6, 8
	s_mov_b32 s1, 0
	s_lshl_b64 s[8:9], s[0:1], 2
	s_waitcnt lgkmcnt(0)
	s_add_u32 s10, s12, s8
	s_addc_u32 s11, s13, s9
	v_lshlrev_b32_e32 v2, 2, v0
	global_load_dword v1, v2, s[10:11]
	s_load_dword s10, s[4:5], 0x18
	s_mov_b32 s7, s1
	s_lshl_b64 s[0:1], s[6:7], 2
	s_add_u32 s0, s14, s0
	s_addc_u32 s1, s15, s1
	s_waitcnt lgkmcnt(0)
	v_cvt_f32_u32_e32 v3, s10
	s_load_dword s4, s[0:1], 0x0
	s_sub_i32 s0, 0, s10
	v_cmp_ne_u32_e32 vcc, 0, v0
	v_rcp_iflag_f32_e32 v3, v3
	v_mul_f32_e32 v3, 0x4f7ffffe, v3
	v_cvt_u32_f32_e32 v3, v3
	v_readfirstlane_b32 s1, v3
	s_mul_i32 s0, s0, s1
	s_mul_hi_u32 s0, s1, s0
	s_add_i32 s1, s1, s0
	s_lshr_b32 s0, s1, 24
	s_mul_i32 s1, s0, s10
	s_sub_i32 s1, 0x100, s1
	s_add_i32 s5, s0, 1
	s_sub_i32 s6, s1, s10
	s_cmp_ge_u32 s1, s10
	s_cselect_b32 s0, s5, s0
	s_cselect_b32 s1, s6, s1
	s_add_i32 s5, s0, 1
	s_cmp_ge_u32 s1, s10
	s_cselect_b32 s5, s5, s0
	s_add_i32 s5, s5, 1
	v_add_u32_e32 v3, -4, v2
	s_max_u32 s6, s10, 1
	s_branch .LBB156_2
.LBB156_1:                              ;   in Loop: Header=BB156_2 Depth=1
	s_or_b64 exec, exec, s[0:1]
	s_waitcnt lgkmcnt(0)
	v_sub_f32_e32 v4, v1, v4
	v_cmp_gt_u32_e64 s[0:1], s4, v0
	v_cndmask_b32_e64 v4, v1, v4, s[0:1]
	s_add_i32 s0, s5, s4
	s_and_b32 s4, s0, 0xff
	s_add_i32 s6, s6, -1
	v_add_f32_e32 v1, v1, v4
	s_cmp_lg_u32 s6, 0
	s_barrier
	s_cbranch_scc0 .LBB156_4
.LBB156_2:                              ; =>This Inner Loop Header: Depth=1
	v_mov_b32_e32 v4, 0x42f60000
	s_waitcnt vmcnt(0)
	ds_write_b32 v2, v1
	s_waitcnt lgkmcnt(0)
	s_barrier
	s_and_saveexec_b64 s[0:1], vcc
	s_cbranch_execz .LBB156_1
; %bb.3:                                ;   in Loop: Header=BB156_2 Depth=1
	ds_read_b32 v4, v3
	s_branch .LBB156_1
.LBB156_4:
	s_add_u32 s0, s2, s8
	s_addc_u32 s1, s3, s9
	v_lshlrev_b32_e32 v0, 2, v0
	global_store_dword v0, v1, s[0:1]
	s_endpgm
	.section	.rodata,"a",@progbits
	.p2align	6, 0x0
	.amdhsa_kernel _Z6kernelI26subtract_left_partial_tileLj256ELj1ELb1EJPfPiS1_jEEvDpT3_
		.amdhsa_group_segment_fixed_size 2048
		.amdhsa_private_segment_fixed_size 0
		.amdhsa_kernarg_size 28
		.amdhsa_user_sgpr_count 6
		.amdhsa_user_sgpr_private_segment_buffer 1
		.amdhsa_user_sgpr_dispatch_ptr 0
		.amdhsa_user_sgpr_queue_ptr 0
		.amdhsa_user_sgpr_kernarg_segment_ptr 1
		.amdhsa_user_sgpr_dispatch_id 0
		.amdhsa_user_sgpr_flat_scratch_init 0
		.amdhsa_user_sgpr_kernarg_preload_length 0
		.amdhsa_user_sgpr_kernarg_preload_offset 0
		.amdhsa_user_sgpr_private_segment_size 0
		.amdhsa_uses_dynamic_stack 0
		.amdhsa_system_sgpr_private_segment_wavefront_offset 0
		.amdhsa_system_sgpr_workgroup_id_x 1
		.amdhsa_system_sgpr_workgroup_id_y 0
		.amdhsa_system_sgpr_workgroup_id_z 0
		.amdhsa_system_sgpr_workgroup_info 0
		.amdhsa_system_vgpr_workitem_id 0
		.amdhsa_next_free_vgpr 5
		.amdhsa_next_free_sgpr 16
		.amdhsa_accum_offset 8
		.amdhsa_reserve_vcc 1
		.amdhsa_reserve_flat_scratch 0
		.amdhsa_float_round_mode_32 0
		.amdhsa_float_round_mode_16_64 0
		.amdhsa_float_denorm_mode_32 3
		.amdhsa_float_denorm_mode_16_64 3
		.amdhsa_dx10_clamp 1
		.amdhsa_ieee_mode 1
		.amdhsa_fp16_overflow 0
		.amdhsa_tg_split 0
		.amdhsa_exception_fp_ieee_invalid_op 0
		.amdhsa_exception_fp_denorm_src 0
		.amdhsa_exception_fp_ieee_div_zero 0
		.amdhsa_exception_fp_ieee_overflow 0
		.amdhsa_exception_fp_ieee_underflow 0
		.amdhsa_exception_fp_ieee_inexact 0
		.amdhsa_exception_int_div_zero 0
	.end_amdhsa_kernel
	.section	.text._Z6kernelI26subtract_left_partial_tileLj256ELj1ELb1EJPfPiS1_jEEvDpT3_,"axG",@progbits,_Z6kernelI26subtract_left_partial_tileLj256ELj1ELb1EJPfPiS1_jEEvDpT3_,comdat
.Lfunc_end156:
	.size	_Z6kernelI26subtract_left_partial_tileLj256ELj1ELb1EJPfPiS1_jEEvDpT3_, .Lfunc_end156-_Z6kernelI26subtract_left_partial_tileLj256ELj1ELb1EJPfPiS1_jEEvDpT3_
                                        ; -- End function
	.section	.AMDGPU.csdata,"",@progbits
; Kernel info:
; codeLenInByte = 328
; NumSgprs: 20
; NumVgprs: 5
; NumAgprs: 0
; TotalNumVgprs: 5
; ScratchSize: 0
; MemoryBound: 0
; FloatMode: 240
; IeeeMode: 1
; LDSByteSize: 2048 bytes/workgroup (compile time only)
; SGPRBlocks: 2
; VGPRBlocks: 0
; NumSGPRsForWavesPerEU: 20
; NumVGPRsForWavesPerEU: 5
; AccumOffset: 8
; Occupancy: 8
; WaveLimiterHint : 0
; COMPUTE_PGM_RSRC2:SCRATCH_EN: 0
; COMPUTE_PGM_RSRC2:USER_SGPR: 6
; COMPUTE_PGM_RSRC2:TRAP_HANDLER: 0
; COMPUTE_PGM_RSRC2:TGID_X_EN: 1
; COMPUTE_PGM_RSRC2:TGID_Y_EN: 0
; COMPUTE_PGM_RSRC2:TGID_Z_EN: 0
; COMPUTE_PGM_RSRC2:TIDIG_COMP_CNT: 0
; COMPUTE_PGM_RSRC3_GFX90A:ACCUM_OFFSET: 1
; COMPUTE_PGM_RSRC3_GFX90A:TG_SPLIT: 0
	.section	.text._Z6kernelI26subtract_left_partial_tileLj256ELj3ELb1EJPfPiS1_jEEvDpT3_,"axG",@progbits,_Z6kernelI26subtract_left_partial_tileLj256ELj3ELb1EJPfPiS1_jEEvDpT3_,comdat
	.protected	_Z6kernelI26subtract_left_partial_tileLj256ELj3ELb1EJPfPiS1_jEEvDpT3_ ; -- Begin function _Z6kernelI26subtract_left_partial_tileLj256ELj3ELb1EJPfPiS1_jEEvDpT3_
	.globl	_Z6kernelI26subtract_left_partial_tileLj256ELj3ELb1EJPfPiS1_jEEvDpT3_
	.p2align	8
	.type	_Z6kernelI26subtract_left_partial_tileLj256ELj3ELb1EJPfPiS1_jEEvDpT3_,@function
_Z6kernelI26subtract_left_partial_tileLj256ELj3ELb1EJPfPiS1_jEEvDpT3_: ; @_Z6kernelI26subtract_left_partial_tileLj256ELj3ELb1EJPfPiS1_jEEvDpT3_
; %bb.0:
	s_load_dwordx4 s[12:15], s[4:5], 0x0
	s_load_dwordx2 s[2:3], s[4:5], 0x10
	s_mul_i32 s0, s6, 0x300
	s_mov_b32 s1, 0
	s_lshl_b64 s[8:9], s[0:1], 2
	s_waitcnt lgkmcnt(0)
	s_add_u32 s10, s12, s8
	s_addc_u32 s11, s13, s9
	v_lshlrev_b32_e32 v4, 2, v0
	global_load_dword v2, v4, s[10:11]
	global_load_dword v3, v4, s[10:11] offset:1024
	global_load_dword v1, v4, s[10:11] offset:2048
	s_load_dword s10, s[4:5], 0x18
	s_mov_b32 s7, s1
	s_lshl_b64 s[0:1], s[6:7], 2
	s_add_u32 s0, s14, s0
	s_addc_u32 s1, s15, s1
	s_waitcnt lgkmcnt(0)
	v_cvt_f32_u32_e32 v5, s10
	s_load_dword s4, s[0:1], 0x0
	s_sub_i32 s0, 0, s10
	v_mad_u32_u24 v6, v0, 3, 2
	v_rcp_iflag_f32_e32 v5, v5
	v_mad_u32_u24 v7, v0, 3, 1
	v_cmp_ne_u32_e32 vcc, 0, v0
	v_add_u32_e32 v8, -4, v4
	v_mul_f32_e32 v5, 0x4f7ffffe, v5
	v_cvt_u32_f32_e32 v5, v5
	v_readfirstlane_b32 s1, v5
	s_mul_i32 s0, s0, s1
	s_mul_hi_u32 s0, s1, s0
	s_add_i32 s1, s1, s0
	s_mul_hi_u32 s0, s1, 0x300
	s_mul_i32 s1, s0, s10
	s_sub_i32 s1, 0x300, s1
	s_add_i32 s5, s0, 1
	s_sub_i32 s6, s1, s10
	s_cmp_ge_u32 s1, s10
	s_cselect_b32 s0, s5, s0
	s_cselect_b32 s1, s6, s1
	s_add_i32 s5, s0, 1
	s_cmp_ge_u32 s1, s10
	s_cselect_b32 s5, s5, s0
	s_add_i32 s5, s5, 1
	v_mul_u32_u24_e32 v5, 3, v0
	s_max_u32 s6, s10, 1
	s_branch .LBB157_2
.LBB157_1:                              ;   in Loop: Header=BB157_2 Depth=1
	s_or_b64 exec, exec, s[0:1]
	v_sub_f32_e32 v10, v1, v3
	v_cmp_gt_u32_e64 s[0:1], s4, v6
	v_cndmask_b32_e64 v12, v1, v10, s[0:1]
	v_sub_f32_e32 v10, v3, v2
	v_cmp_gt_u32_e64 s[0:1], s4, v7
	v_cndmask_b32_e64 v11, v3, v10, s[0:1]
	s_waitcnt lgkmcnt(0)
	v_sub_f32_e32 v9, v2, v9
	v_cmp_gt_u32_e64 s[0:1], s4, v5
	v_cndmask_b32_e64 v10, v2, v9, s[0:1]
	s_add_i32 s0, s5, s4
	s_mul_hi_u32 s1, s0, 0xaaaaaaab
	s_lshr_b32 s1, s1, 9
	s_mulk_i32 s1, 0x300
	s_sub_i32 s4, s0, s1
	s_add_i32 s6, s6, -1
	v_pk_add_f32 v[2:3], v[2:3], v[10:11]
	v_add_f32_e32 v1, v1, v12
	s_cmp_lg_u32 s6, 0
	s_barrier
	s_cbranch_scc0 .LBB157_4
.LBB157_2:                              ; =>This Inner Loop Header: Depth=1
	v_mov_b32_e32 v9, 0x42f60000
	s_waitcnt vmcnt(0)
	ds_write_b32 v4, v1
	s_waitcnt lgkmcnt(0)
	s_barrier
	s_and_saveexec_b64 s[0:1], vcc
	s_cbranch_execz .LBB157_1
; %bb.3:                                ;   in Loop: Header=BB157_2 Depth=1
	ds_read_b32 v9, v8
	s_branch .LBB157_1
.LBB157_4:
	s_add_u32 s0, s2, s8
	s_addc_u32 s1, s3, s9
	v_lshlrev_b32_e32 v0, 2, v0
	global_store_dword v0, v2, s[0:1]
	global_store_dword v0, v3, s[0:1] offset:1024
	global_store_dword v0, v1, s[0:1] offset:2048
	s_endpgm
	.section	.rodata,"a",@progbits
	.p2align	6, 0x0
	.amdhsa_kernel _Z6kernelI26subtract_left_partial_tileLj256ELj3ELb1EJPfPiS1_jEEvDpT3_
		.amdhsa_group_segment_fixed_size 2048
		.amdhsa_private_segment_fixed_size 0
		.amdhsa_kernarg_size 28
		.amdhsa_user_sgpr_count 6
		.amdhsa_user_sgpr_private_segment_buffer 1
		.amdhsa_user_sgpr_dispatch_ptr 0
		.amdhsa_user_sgpr_queue_ptr 0
		.amdhsa_user_sgpr_kernarg_segment_ptr 1
		.amdhsa_user_sgpr_dispatch_id 0
		.amdhsa_user_sgpr_flat_scratch_init 0
		.amdhsa_user_sgpr_kernarg_preload_length 0
		.amdhsa_user_sgpr_kernarg_preload_offset 0
		.amdhsa_user_sgpr_private_segment_size 0
		.amdhsa_uses_dynamic_stack 0
		.amdhsa_system_sgpr_private_segment_wavefront_offset 0
		.amdhsa_system_sgpr_workgroup_id_x 1
		.amdhsa_system_sgpr_workgroup_id_y 0
		.amdhsa_system_sgpr_workgroup_id_z 0
		.amdhsa_system_sgpr_workgroup_info 0
		.amdhsa_system_vgpr_workitem_id 0
		.amdhsa_next_free_vgpr 13
		.amdhsa_next_free_sgpr 16
		.amdhsa_accum_offset 16
		.amdhsa_reserve_vcc 1
		.amdhsa_reserve_flat_scratch 0
		.amdhsa_float_round_mode_32 0
		.amdhsa_float_round_mode_16_64 0
		.amdhsa_float_denorm_mode_32 3
		.amdhsa_float_denorm_mode_16_64 3
		.amdhsa_dx10_clamp 1
		.amdhsa_ieee_mode 1
		.amdhsa_fp16_overflow 0
		.amdhsa_tg_split 0
		.amdhsa_exception_fp_ieee_invalid_op 0
		.amdhsa_exception_fp_denorm_src 0
		.amdhsa_exception_fp_ieee_div_zero 0
		.amdhsa_exception_fp_ieee_overflow 0
		.amdhsa_exception_fp_ieee_underflow 0
		.amdhsa_exception_fp_ieee_inexact 0
		.amdhsa_exception_int_div_zero 0
	.end_amdhsa_kernel
	.section	.text._Z6kernelI26subtract_left_partial_tileLj256ELj3ELb1EJPfPiS1_jEEvDpT3_,"axG",@progbits,_Z6kernelI26subtract_left_partial_tileLj256ELj3ELb1EJPfPiS1_jEEvDpT3_,comdat
.Lfunc_end157:
	.size	_Z6kernelI26subtract_left_partial_tileLj256ELj3ELb1EJPfPiS1_jEEvDpT3_, .Lfunc_end157-_Z6kernelI26subtract_left_partial_tileLj256ELj3ELb1EJPfPiS1_jEEvDpT3_
                                        ; -- End function
	.section	.AMDGPU.csdata,"",@progbits
; Kernel info:
; codeLenInByte = 448
; NumSgprs: 20
; NumVgprs: 13
; NumAgprs: 0
; TotalNumVgprs: 13
; ScratchSize: 0
; MemoryBound: 0
; FloatMode: 240
; IeeeMode: 1
; LDSByteSize: 2048 bytes/workgroup (compile time only)
; SGPRBlocks: 2
; VGPRBlocks: 1
; NumSGPRsForWavesPerEU: 20
; NumVGPRsForWavesPerEU: 13
; AccumOffset: 16
; Occupancy: 8
; WaveLimiterHint : 1
; COMPUTE_PGM_RSRC2:SCRATCH_EN: 0
; COMPUTE_PGM_RSRC2:USER_SGPR: 6
; COMPUTE_PGM_RSRC2:TRAP_HANDLER: 0
; COMPUTE_PGM_RSRC2:TGID_X_EN: 1
; COMPUTE_PGM_RSRC2:TGID_Y_EN: 0
; COMPUTE_PGM_RSRC2:TGID_Z_EN: 0
; COMPUTE_PGM_RSRC2:TIDIG_COMP_CNT: 0
; COMPUTE_PGM_RSRC3_GFX90A:ACCUM_OFFSET: 3
; COMPUTE_PGM_RSRC3_GFX90A:TG_SPLIT: 0
	.section	.text._Z6kernelI26subtract_left_partial_tileLj256ELj4ELb1EJPfPiS1_jEEvDpT3_,"axG",@progbits,_Z6kernelI26subtract_left_partial_tileLj256ELj4ELb1EJPfPiS1_jEEvDpT3_,comdat
	.protected	_Z6kernelI26subtract_left_partial_tileLj256ELj4ELb1EJPfPiS1_jEEvDpT3_ ; -- Begin function _Z6kernelI26subtract_left_partial_tileLj256ELj4ELb1EJPfPiS1_jEEvDpT3_
	.globl	_Z6kernelI26subtract_left_partial_tileLj256ELj4ELb1EJPfPiS1_jEEvDpT3_
	.p2align	8
	.type	_Z6kernelI26subtract_left_partial_tileLj256ELj4ELb1EJPfPiS1_jEEvDpT3_,@function
_Z6kernelI26subtract_left_partial_tileLj256ELj4ELb1EJPfPiS1_jEEvDpT3_: ; @_Z6kernelI26subtract_left_partial_tileLj256ELj4ELb1EJPfPiS1_jEEvDpT3_
; %bb.0:
	s_load_dwordx4 s[12:15], s[4:5], 0x0
	s_load_dwordx2 s[2:3], s[4:5], 0x10
	s_lshl_b32 s0, s6, 10
	s_mov_b32 s1, 0
	s_lshl_b64 s[8:9], s[0:1], 2
	s_waitcnt lgkmcnt(0)
	s_add_u32 s10, s12, s8
	s_addc_u32 s11, s13, s9
	v_lshlrev_b32_e32 v1, 2, v0
	global_load_dword v4, v1, s[10:11]
	global_load_dword v5, v1, s[10:11] offset:1024
	global_load_dword v2, v1, s[10:11] offset:2048
	;; [unrolled: 1-line block ×3, first 2 shown]
	s_load_dword s10, s[4:5], 0x18
	s_mov_b32 s7, s1
	s_lshl_b64 s[0:1], s[6:7], 2
	s_add_u32 s0, s14, s0
	s_addc_u32 s1, s15, s1
	s_waitcnt lgkmcnt(0)
	v_cvt_f32_u32_e32 v6, s10
	s_load_dword s4, s[0:1], 0x0
	s_sub_i32 s0, 0, s10
	v_or_b32_e32 v7, 2, v1
	v_rcp_iflag_f32_e32 v6, v6
	v_or_b32_e32 v8, 1, v1
	v_cmp_ne_u32_e32 vcc, 0, v0
	v_add_u32_e32 v9, -4, v1
	v_mul_f32_e32 v6, 0x4f7ffffe, v6
	v_cvt_u32_f32_e32 v6, v6
	v_readfirstlane_b32 s1, v6
	s_mul_i32 s0, s0, s1
	s_mul_hi_u32 s0, s1, s0
	s_add_i32 s1, s1, s0
	s_lshr_b32 s0, s1, 22
	s_mul_i32 s1, s0, s10
	s_sub_i32 s1, 0x400, s1
	s_add_i32 s5, s0, 1
	s_sub_i32 s6, s1, s10
	s_cmp_ge_u32 s1, s10
	s_cselect_b32 s0, s5, s0
	s_cselect_b32 s1, s6, s1
	s_add_i32 s5, s0, 1
	s_cmp_ge_u32 s1, s10
	s_cselect_b32 s5, s5, s0
	s_add_i32 s5, s5, 1
	v_or_b32_e32 v6, 3, v1
	s_max_u32 s6, s10, 1
	s_branch .LBB158_2
.LBB158_1:                              ;   in Loop: Header=BB158_2 Depth=1
	s_or_b64 exec, exec, s[0:1]
	v_sub_f32_e32 v11, v3, v2
	v_cmp_gt_u32_e64 s[0:1], s4, v6
	v_cndmask_b32_e64 v13, v3, v11, s[0:1]
	v_sub_f32_e32 v11, v2, v5
	v_cmp_gt_u32_e64 s[0:1], s4, v7
	v_cndmask_b32_e64 v12, v2, v11, s[0:1]
	;; [unrolled: 3-line block ×3, first 2 shown]
	s_waitcnt lgkmcnt(0)
	v_sub_f32_e32 v10, v4, v10
	v_cmp_gt_u32_e64 s[0:1], s4, v1
	v_cndmask_b32_e64 v10, v4, v10, s[0:1]
	s_add_i32 s0, s5, s4
	s_and_b32 s4, s0, 0x3ff
	s_add_i32 s6, s6, -1
	v_pk_add_f32 v[4:5], v[4:5], v[10:11]
	v_pk_add_f32 v[2:3], v[2:3], v[12:13]
	s_cmp_lg_u32 s6, 0
	s_barrier
	s_cbranch_scc0 .LBB158_4
.LBB158_2:                              ; =>This Inner Loop Header: Depth=1
	v_mov_b32_e32 v10, 0x42f60000
	s_waitcnt vmcnt(0)
	ds_write_b32 v1, v3
	s_waitcnt lgkmcnt(0)
	s_barrier
	s_and_saveexec_b64 s[0:1], vcc
	s_cbranch_execz .LBB158_1
; %bb.3:                                ;   in Loop: Header=BB158_2 Depth=1
	ds_read_b32 v10, v9
	s_branch .LBB158_1
.LBB158_4:
	s_add_u32 s0, s2, s8
	s_addc_u32 s1, s3, s9
	v_lshlrev_b32_e32 v0, 2, v0
	global_store_dword v0, v4, s[0:1]
	global_store_dword v0, v5, s[0:1] offset:1024
	global_store_dword v0, v2, s[0:1] offset:2048
	;; [unrolled: 1-line block ×3, first 2 shown]
	s_endpgm
	.section	.rodata,"a",@progbits
	.p2align	6, 0x0
	.amdhsa_kernel _Z6kernelI26subtract_left_partial_tileLj256ELj4ELb1EJPfPiS1_jEEvDpT3_
		.amdhsa_group_segment_fixed_size 2048
		.amdhsa_private_segment_fixed_size 0
		.amdhsa_kernarg_size 28
		.amdhsa_user_sgpr_count 6
		.amdhsa_user_sgpr_private_segment_buffer 1
		.amdhsa_user_sgpr_dispatch_ptr 0
		.amdhsa_user_sgpr_queue_ptr 0
		.amdhsa_user_sgpr_kernarg_segment_ptr 1
		.amdhsa_user_sgpr_dispatch_id 0
		.amdhsa_user_sgpr_flat_scratch_init 0
		.amdhsa_user_sgpr_kernarg_preload_length 0
		.amdhsa_user_sgpr_kernarg_preload_offset 0
		.amdhsa_user_sgpr_private_segment_size 0
		.amdhsa_uses_dynamic_stack 0
		.amdhsa_system_sgpr_private_segment_wavefront_offset 0
		.amdhsa_system_sgpr_workgroup_id_x 1
		.amdhsa_system_sgpr_workgroup_id_y 0
		.amdhsa_system_sgpr_workgroup_id_z 0
		.amdhsa_system_sgpr_workgroup_info 0
		.amdhsa_system_vgpr_workitem_id 0
		.amdhsa_next_free_vgpr 14
		.amdhsa_next_free_sgpr 16
		.amdhsa_accum_offset 16
		.amdhsa_reserve_vcc 1
		.amdhsa_reserve_flat_scratch 0
		.amdhsa_float_round_mode_32 0
		.amdhsa_float_round_mode_16_64 0
		.amdhsa_float_denorm_mode_32 3
		.amdhsa_float_denorm_mode_16_64 3
		.amdhsa_dx10_clamp 1
		.amdhsa_ieee_mode 1
		.amdhsa_fp16_overflow 0
		.amdhsa_tg_split 0
		.amdhsa_exception_fp_ieee_invalid_op 0
		.amdhsa_exception_fp_denorm_src 0
		.amdhsa_exception_fp_ieee_div_zero 0
		.amdhsa_exception_fp_ieee_overflow 0
		.amdhsa_exception_fp_ieee_underflow 0
		.amdhsa_exception_fp_ieee_inexact 0
		.amdhsa_exception_int_div_zero 0
	.end_amdhsa_kernel
	.section	.text._Z6kernelI26subtract_left_partial_tileLj256ELj4ELb1EJPfPiS1_jEEvDpT3_,"axG",@progbits,_Z6kernelI26subtract_left_partial_tileLj256ELj4ELb1EJPfPiS1_jEEvDpT3_,comdat
.Lfunc_end158:
	.size	_Z6kernelI26subtract_left_partial_tileLj256ELj4ELb1EJPfPiS1_jEEvDpT3_, .Lfunc_end158-_Z6kernelI26subtract_left_partial_tileLj256ELj4ELb1EJPfPiS1_jEEvDpT3_
                                        ; -- End function
	.section	.AMDGPU.csdata,"",@progbits
; Kernel info:
; codeLenInByte = 460
; NumSgprs: 20
; NumVgprs: 14
; NumAgprs: 0
; TotalNumVgprs: 14
; ScratchSize: 0
; MemoryBound: 0
; FloatMode: 240
; IeeeMode: 1
; LDSByteSize: 2048 bytes/workgroup (compile time only)
; SGPRBlocks: 2
; VGPRBlocks: 1
; NumSGPRsForWavesPerEU: 20
; NumVGPRsForWavesPerEU: 14
; AccumOffset: 16
; Occupancy: 8
; WaveLimiterHint : 1
; COMPUTE_PGM_RSRC2:SCRATCH_EN: 0
; COMPUTE_PGM_RSRC2:USER_SGPR: 6
; COMPUTE_PGM_RSRC2:TRAP_HANDLER: 0
; COMPUTE_PGM_RSRC2:TGID_X_EN: 1
; COMPUTE_PGM_RSRC2:TGID_Y_EN: 0
; COMPUTE_PGM_RSRC2:TGID_Z_EN: 0
; COMPUTE_PGM_RSRC2:TIDIG_COMP_CNT: 0
; COMPUTE_PGM_RSRC3_GFX90A:ACCUM_OFFSET: 3
; COMPUTE_PGM_RSRC3_GFX90A:TG_SPLIT: 0
	.section	.text._Z6kernelI26subtract_left_partial_tileLj256ELj8ELb1EJPfPiS1_jEEvDpT3_,"axG",@progbits,_Z6kernelI26subtract_left_partial_tileLj256ELj8ELb1EJPfPiS1_jEEvDpT3_,comdat
	.protected	_Z6kernelI26subtract_left_partial_tileLj256ELj8ELb1EJPfPiS1_jEEvDpT3_ ; -- Begin function _Z6kernelI26subtract_left_partial_tileLj256ELj8ELb1EJPfPiS1_jEEvDpT3_
	.globl	_Z6kernelI26subtract_left_partial_tileLj256ELj8ELb1EJPfPiS1_jEEvDpT3_
	.p2align	8
	.type	_Z6kernelI26subtract_left_partial_tileLj256ELj8ELb1EJPfPiS1_jEEvDpT3_,@function
_Z6kernelI26subtract_left_partial_tileLj256ELj8ELb1EJPfPiS1_jEEvDpT3_: ; @_Z6kernelI26subtract_left_partial_tileLj256ELj8ELb1EJPfPiS1_jEEvDpT3_
; %bb.0:
	s_load_dwordx4 s[0:3], s[4:5], 0x0
	s_load_dwordx2 s[8:9], s[4:5], 0x10
	s_lshl_b32 s12, s6, 11
	s_mov_b32 s13, 0
	s_lshl_b64 s[10:11], s[12:13], 2
	s_waitcnt lgkmcnt(0)
	s_add_u32 s0, s0, s10
	s_addc_u32 s1, s1, s11
	v_lshlrev_b32_e32 v19, 2, v0
	v_mov_b32_e32 v1, s1
	v_add_co_u32_e32 v3, vcc, s0, v19
	v_addc_co_u32_e32 v1, vcc, 0, v1, vcc
	global_load_dword v2, v19, s[0:1]
	global_load_dword v10, v19, s[0:1] offset:1024
	global_load_dword v4, v19, s[0:1] offset:2048
	;; [unrolled: 1-line block ×3, first 2 shown]
	s_movk_i32 s0, 0x1000
	v_add_co_u32_e32 v14, vcc, s0, v3
	v_addc_co_u32_e32 v15, vcc, 0, v1, vcc
	global_load_dword v6, v[14:15], off
	global_load_dword v20, v[14:15], off offset:1024
	global_load_dword v8, v[14:15], off offset:2048
	;; [unrolled: 1-line block ×3, first 2 shown]
	s_load_dword s4, s[4:5], 0x18
	s_mov_b32 s7, s13
	s_lshl_b64 s[0:1], s[6:7], 2
	s_add_u32 s0, s2, s0
	s_addc_u32 s1, s3, s1
	s_waitcnt lgkmcnt(0)
	v_cvt_f32_u32_e32 v1, s4
	s_load_dword s2, s[0:1], 0x0
	s_sub_i32 s0, 0, s4
	v_lshlrev_b32_e32 v22, 3, v0
	v_rcp_iflag_f32_e32 v1, v1
	v_or_b32_e32 v14, 6, v22
	v_or_b32_e32 v15, 5, v22
	;; [unrolled: 1-line block ×3, first 2 shown]
	v_mul_f32_e32 v1, 0x4f7ffffe, v1
	v_cvt_u32_f32_e32 v1, v1
	v_or_b32_e32 v17, 3, v22
	v_or_b32_e32 v18, 2, v22
	v_or_b32_e32 v23, 1, v22
	v_readfirstlane_b32 s1, v1
	s_mul_i32 s0, s0, s1
	s_mul_hi_u32 s0, s1, s0
	s_add_i32 s1, s1, s0
	s_lshr_b32 s0, s1, 21
	s_mul_i32 s1, s0, s4
	s_sub_i32 s1, 0x800, s1
	s_add_i32 s3, s0, 1
	s_sub_i32 s5, s1, s4
	s_cmp_ge_u32 s1, s4
	s_cselect_b32 s0, s3, s0
	s_cselect_b32 s1, s5, s1
	s_add_i32 s3, s0, 1
	s_cmp_ge_u32 s1, s4
	s_cselect_b32 s3, s3, s0
	s_add_i32 s3, s3, 1
	v_or_b32_e32 v1, 7, v22
	v_cmp_ne_u32_e32 vcc, 0, v0
	v_add_u32_e32 v24, -4, v19
	s_max_u32 s4, s4, 1
	s_branch .LBB159_2
.LBB159_1:                              ;   in Loop: Header=BB159_2 Depth=1
	s_or_b64 exec, exec, s[0:1]
	v_mov_b32_e32 v21, v8
	v_pk_add_f32 v[26:27], v[8:9], v[20:21] neg_lo:[0,1] neg_hi:[0,1]
	v_cmp_gt_u32_e64 s[0:1], s2, v1
	v_cndmask_b32_e64 v27, v9, v27, s[0:1]
	v_cmp_gt_u32_e64 s[0:1], s2, v14
	v_mov_b32_e32 v7, v20
	v_mov_b32_e32 v13, v6
	v_cndmask_b32_e64 v26, v8, v26, s[0:1]
	v_pk_add_f32 v[28:29], v[6:7], v[12:13] neg_lo:[0,1] neg_hi:[0,1]
	v_cmp_gt_u32_e64 s[0:1], s2, v15
	v_cndmask_b32_e64 v21, v20, v29, s[0:1]
	v_cmp_gt_u32_e64 s[0:1], s2, v16
	v_mov_b32_e32 v5, v12
	v_mov_b32_e32 v11, v4
	v_cndmask_b32_e64 v20, v6, v28, s[0:1]
	v_pk_add_f32 v[28:29], v[4:5], v[10:11] neg_lo:[0,1] neg_hi:[0,1]
	v_cmp_gt_u32_e64 s[0:1], s2, v17
	v_cndmask_b32_e64 v13, v12, v29, s[0:1]
	v_cmp_gt_u32_e64 s[0:1], s2, v18
	v_cndmask_b32_e64 v12, v4, v28, s[0:1]
	v_sub_f32_e32 v11, v10, v2
	v_cmp_gt_u32_e64 s[0:1], s2, v23
	v_cndmask_b32_e64 v29, v10, v11, s[0:1]
	s_waitcnt lgkmcnt(0)
	v_sub_f32_e32 v3, v2, v3
	v_cmp_gt_u32_e64 s[0:1], s2, v22
	v_cndmask_b32_e64 v28, v2, v3, s[0:1]
	v_mov_b32_e32 v3, v10
	s_add_i32 s0, s3, s2
	v_pk_add_f32 v[2:3], v[2:3], v[28:29]
	v_pk_add_f32 v[4:5], v[4:5], v[12:13]
	;; [unrolled: 1-line block ×3, first 2 shown]
	s_and_b32 s2, s0, 0x7ff
	s_add_i32 s4, s4, -1
	v_pk_add_f32 v[8:9], v[8:9], v[26:27]
	s_cmp_lg_u32 s4, 0
	v_mov_b32_e32 v10, v3
	v_mov_b32_e32 v12, v5
	;; [unrolled: 1-line block ×3, first 2 shown]
	s_barrier
	s_cbranch_scc0 .LBB159_4
.LBB159_2:                              ; =>This Inner Loop Header: Depth=1
	v_mov_b32_e32 v3, 0x42f60000
	s_waitcnt vmcnt(0)
	ds_write_b32 v19, v9
	s_waitcnt lgkmcnt(0)
	s_barrier
	s_and_saveexec_b64 s[0:1], vcc
	s_cbranch_execz .LBB159_1
; %bb.3:                                ;   in Loop: Header=BB159_2 Depth=1
	ds_read_b32 v3, v24
	s_branch .LBB159_1
.LBB159_4:
	s_add_u32 s0, s8, s10
	s_addc_u32 s1, s9, s11
	v_lshlrev_b32_e32 v0, 2, v0
	v_mov_b32_e32 v1, s1
	v_add_co_u32_e32 v10, vcc, s0, v0
	v_addc_co_u32_e32 v1, vcc, 0, v1, vcc
	global_store_dword v0, v2, s[0:1]
	global_store_dword v0, v3, s[0:1] offset:1024
	global_store_dword v0, v4, s[0:1] offset:2048
	;; [unrolled: 1-line block ×3, first 2 shown]
	v_add_co_u32_e32 v0, vcc, 0x1000, v10
	v_addc_co_u32_e32 v1, vcc, 0, v1, vcc
	global_store_dword v[0:1], v6, off
	global_store_dword v[0:1], v7, off offset:1024
	global_store_dword v[0:1], v8, off offset:2048
	;; [unrolled: 1-line block ×3, first 2 shown]
	s_endpgm
	.section	.rodata,"a",@progbits
	.p2align	6, 0x0
	.amdhsa_kernel _Z6kernelI26subtract_left_partial_tileLj256ELj8ELb1EJPfPiS1_jEEvDpT3_
		.amdhsa_group_segment_fixed_size 2048
		.amdhsa_private_segment_fixed_size 0
		.amdhsa_kernarg_size 28
		.amdhsa_user_sgpr_count 6
		.amdhsa_user_sgpr_private_segment_buffer 1
		.amdhsa_user_sgpr_dispatch_ptr 0
		.amdhsa_user_sgpr_queue_ptr 0
		.amdhsa_user_sgpr_kernarg_segment_ptr 1
		.amdhsa_user_sgpr_dispatch_id 0
		.amdhsa_user_sgpr_flat_scratch_init 0
		.amdhsa_user_sgpr_kernarg_preload_length 0
		.amdhsa_user_sgpr_kernarg_preload_offset 0
		.amdhsa_user_sgpr_private_segment_size 0
		.amdhsa_uses_dynamic_stack 0
		.amdhsa_system_sgpr_private_segment_wavefront_offset 0
		.amdhsa_system_sgpr_workgroup_id_x 1
		.amdhsa_system_sgpr_workgroup_id_y 0
		.amdhsa_system_sgpr_workgroup_id_z 0
		.amdhsa_system_sgpr_workgroup_info 0
		.amdhsa_system_vgpr_workitem_id 0
		.amdhsa_next_free_vgpr 30
		.amdhsa_next_free_sgpr 14
		.amdhsa_accum_offset 32
		.amdhsa_reserve_vcc 1
		.amdhsa_reserve_flat_scratch 0
		.amdhsa_float_round_mode_32 0
		.amdhsa_float_round_mode_16_64 0
		.amdhsa_float_denorm_mode_32 3
		.amdhsa_float_denorm_mode_16_64 3
		.amdhsa_dx10_clamp 1
		.amdhsa_ieee_mode 1
		.amdhsa_fp16_overflow 0
		.amdhsa_tg_split 0
		.amdhsa_exception_fp_ieee_invalid_op 0
		.amdhsa_exception_fp_denorm_src 0
		.amdhsa_exception_fp_ieee_div_zero 0
		.amdhsa_exception_fp_ieee_overflow 0
		.amdhsa_exception_fp_ieee_underflow 0
		.amdhsa_exception_fp_ieee_inexact 0
		.amdhsa_exception_int_div_zero 0
	.end_amdhsa_kernel
	.section	.text._Z6kernelI26subtract_left_partial_tileLj256ELj8ELb1EJPfPiS1_jEEvDpT3_,"axG",@progbits,_Z6kernelI26subtract_left_partial_tileLj256ELj8ELb1EJPfPiS1_jEEvDpT3_,comdat
.Lfunc_end159:
	.size	_Z6kernelI26subtract_left_partial_tileLj256ELj8ELb1EJPfPiS1_jEEvDpT3_, .Lfunc_end159-_Z6kernelI26subtract_left_partial_tileLj256ELj8ELb1EJPfPiS1_jEEvDpT3_
                                        ; -- End function
	.section	.AMDGPU.csdata,"",@progbits
; Kernel info:
; codeLenInByte = 724
; NumSgprs: 18
; NumVgprs: 30
; NumAgprs: 0
; TotalNumVgprs: 30
; ScratchSize: 0
; MemoryBound: 0
; FloatMode: 240
; IeeeMode: 1
; LDSByteSize: 2048 bytes/workgroup (compile time only)
; SGPRBlocks: 2
; VGPRBlocks: 3
; NumSGPRsForWavesPerEU: 18
; NumVGPRsForWavesPerEU: 30
; AccumOffset: 32
; Occupancy: 8
; WaveLimiterHint : 1
; COMPUTE_PGM_RSRC2:SCRATCH_EN: 0
; COMPUTE_PGM_RSRC2:USER_SGPR: 6
; COMPUTE_PGM_RSRC2:TRAP_HANDLER: 0
; COMPUTE_PGM_RSRC2:TGID_X_EN: 1
; COMPUTE_PGM_RSRC2:TGID_Y_EN: 0
; COMPUTE_PGM_RSRC2:TGID_Z_EN: 0
; COMPUTE_PGM_RSRC2:TIDIG_COMP_CNT: 0
; COMPUTE_PGM_RSRC3_GFX90A:ACCUM_OFFSET: 7
; COMPUTE_PGM_RSRC3_GFX90A:TG_SPLIT: 0
	.section	.text._Z6kernelI26subtract_left_partial_tileLj256ELj16ELb1EJPfPiS1_jEEvDpT3_,"axG",@progbits,_Z6kernelI26subtract_left_partial_tileLj256ELj16ELb1EJPfPiS1_jEEvDpT3_,comdat
	.protected	_Z6kernelI26subtract_left_partial_tileLj256ELj16ELb1EJPfPiS1_jEEvDpT3_ ; -- Begin function _Z6kernelI26subtract_left_partial_tileLj256ELj16ELb1EJPfPiS1_jEEvDpT3_
	.globl	_Z6kernelI26subtract_left_partial_tileLj256ELj16ELb1EJPfPiS1_jEEvDpT3_
	.p2align	8
	.type	_Z6kernelI26subtract_left_partial_tileLj256ELj16ELb1EJPfPiS1_jEEvDpT3_,@function
_Z6kernelI26subtract_left_partial_tileLj256ELj16ELb1EJPfPiS1_jEEvDpT3_: ; @_Z6kernelI26subtract_left_partial_tileLj256ELj16ELb1EJPfPiS1_jEEvDpT3_
; %bb.0:
	s_load_dwordx4 s[0:3], s[4:5], 0x0
	s_load_dwordx2 s[8:9], s[4:5], 0x10
	s_lshl_b32 s12, s6, 12
	s_mov_b32 s13, 0
	s_lshl_b64 s[10:11], s[12:13], 2
	s_waitcnt lgkmcnt(0)
	s_add_u32 s0, s0, s10
	s_addc_u32 s1, s1, s11
	v_lshlrev_b32_e32 v31, 2, v0
	v_mov_b32_e32 v1, s1
	v_add_co_u32_e32 v2, vcc, s0, v31
	v_addc_co_u32_e32 v1, vcc, 0, v1, vcc
	global_load_dword v3, v31, s[0:1]
	global_load_dword v8, v31, s[0:1] offset:1024
	global_load_dword v9, v31, s[0:1] offset:2048
	;; [unrolled: 1-line block ×3, first 2 shown]
	s_movk_i32 s0, 0x1000
	v_add_co_u32_e32 v18, vcc, s0, v2
	v_addc_co_u32_e32 v19, vcc, 0, v1, vcc
	s_movk_i32 s0, 0x2000
	v_add_co_u32_e32 v14, vcc, s0, v2
	v_addc_co_u32_e32 v15, vcc, 0, v1, vcc
	s_movk_i32 s0, 0x3000
	v_add_co_u32_e32 v20, vcc, s0, v2
	global_load_dword v5, v[14:15], off offset:-4096
	global_load_dword v13, v[14:15], off
	global_load_dword v10, v[14:15], off offset:1024
	global_load_dword v11, v[14:15], off offset:2048
	;; [unrolled: 1-line block ×3, first 2 shown]
	v_addc_co_u32_e32 v21, vcc, 0, v1, vcc
	global_load_dword v16, v[18:19], off offset:1024
	global_load_dword v17, v[18:19], off offset:2048
	;; [unrolled: 1-line block ×3, first 2 shown]
	global_load_dword v7, v[20:21], off
	global_load_dword v15, v[20:21], off offset:1024
	global_load_dword v14, v[20:21], off offset:2048
	;; [unrolled: 1-line block ×3, first 2 shown]
	s_load_dword s12, s[4:5], 0x18
	s_mov_b32 s7, s13
	s_lshl_b64 s[0:1], s[6:7], 2
	s_add_u32 s0, s2, s0
	s_addc_u32 s1, s3, s1
	s_waitcnt lgkmcnt(0)
	v_cvt_f32_u32_e32 v1, s12
	s_load_dword s4, s[0:1], 0x0
	s_sub_i32 s0, 0, s12
	v_lshlrev_b32_e32 v32, 4, v0
	v_rcp_iflag_f32_e32 v1, v1
	v_or_b32_e32 v33, 15, v32
	v_or_b32_e32 v18, 14, v32
	v_or_b32_e32 v19, 12, v32
	v_mul_f32_e32 v1, 0x4f7ffffe, v1
	v_cvt_u32_f32_e32 v1, v1
	v_or_b32_e32 v20, 11, v32
	v_or_b32_e32 v21, 10, v32
	;; [unrolled: 1-line block ×3, first 2 shown]
	v_readfirstlane_b32 s1, v1
	s_mul_i32 s0, s0, s1
	s_mul_hi_u32 s0, s1, s0
	s_add_i32 s1, s1, s0
	s_lshr_b32 s0, s1, 20
	s_mul_i32 s1, s0, s12
	s_sub_i32 s1, 0x1000, s1
	s_add_i32 s2, s0, 1
	s_sub_i32 s3, s1, s12
	s_cmp_ge_u32 s1, s12
	s_cselect_b32 s0, s2, s0
	s_cselect_b32 s1, s3, s1
	s_add_i32 s2, s0, 1
	s_cmp_ge_u32 s1, s12
	s_cselect_b32 s5, s2, s0
	s_add_i32 s5, s5, 1
	v_or_b32_e32 v1, 13, v32
	v_or_b32_e32 v23, 8, v32
	;; [unrolled: 1-line block ×9, first 2 shown]
	v_cmp_ne_u32_e32 vcc, 0, v0
	v_add_u32_e32 v34, -4, v31
	s_max_u32 s6, s12, 1
	s_branch .LBB160_2
.LBB160_1:                              ;   in Loop: Header=BB160_2 Depth=1
	s_or_b64 exec, exec, s[0:1]
	v_mov_b32_e32 v36, v15
	v_mov_b32_e32 v37, v7
	v_pk_add_f32 v[36:37], v[14:15], v[36:37] neg_lo:[0,1] neg_hi:[0,1]
	v_cmp_gt_u32_e64 s[0:1], s4, v1
	v_cndmask_b32_e64 v37, v15, v37, s[0:1]
	v_cmp_gt_u32_e64 s[0:1], s4, v18
	v_mov_b32_e32 v38, v11
	v_mov_b32_e32 v39, v6
	v_cndmask_b32_e64 v36, v14, v36, s[0:1]
	v_pk_add_f32 v[38:39], v[6:7], v[38:39] neg_lo:[0,1] neg_hi:[0,1]
	v_cmp_gt_u32_e64 s[0:1], s4, v19
	v_cndmask_b32_e64 v39, v7, v39, s[0:1]
	v_cmp_gt_u32_e64 s[0:1], s4, v20
	v_mov_b32_e32 v40, v13
	v_mov_b32_e32 v41, v10
	v_cndmask_b32_e64 v38, v6, v38, s[0:1]
	;; [unrolled: 7-line block ×5, first 2 shown]
	v_pk_add_f32 v[46:47], v[4:5], v[46:47] neg_lo:[0,1] neg_hi:[0,1]
	v_cmp_gt_u32_e64 s[0:1], s4, v28
	v_cmp_gt_u32_e64 s[2:3], s4, v27
	v_mov_b32_e32 v48, v3
	v_mov_b32_e32 v49, v8
	v_cndmask_b32_e64 v47, v5, v47, s[2:3]
	v_cndmask_b32_e64 v46, v4, v46, s[0:1]
	v_pk_add_f32 v[48:49], v[8:9], v[48:49] neg_lo:[0,1] neg_hi:[0,1]
	v_cmp_gt_u32_e64 s[0:1], s4, v30
	v_cmp_gt_u32_e64 s[2:3], s4, v29
	v_cndmask_b32_e64 v49, v9, v49, s[2:3]
	v_cndmask_b32_e64 v48, v8, v48, s[0:1]
	s_waitcnt lgkmcnt(0)
	v_sub_f32_e32 v35, v3, v35
	v_cmp_gt_u32_e64 s[0:1], s4, v32
	v_pk_add_f32 v[8:9], v[8:9], v[48:49]
	v_sub_f32_e32 v48, v2, v14
	v_cmp_gt_u32_e64 s[2:3], s4, v33
	v_cndmask_b32_e64 v49, v3, v35, s[0:1]
	s_add_i32 s0, s5, s4
	v_cndmask_b32_e64 v48, v2, v48, s[2:3]
	s_and_b32 s4, s0, 0xfff
	s_add_i32 s6, s6, -1
	v_pk_add_f32 v[4:5], v[4:5], v[46:47]
	v_pk_add_f32 v[16:17], v[16:17], v[44:45]
	;; [unrolled: 1-line block ×7, first 2 shown]
	s_cmp_lg_u32 s6, 0
	s_barrier
	s_cbranch_scc0 .LBB160_4
.LBB160_2:                              ; =>This Inner Loop Header: Depth=1
	v_mov_b32_e32 v35, 0x42f60000
	s_waitcnt vmcnt(0)
	ds_write_b32 v31, v2
	s_waitcnt lgkmcnt(0)
	s_barrier
	s_and_saveexec_b64 s[0:1], vcc
	s_cbranch_execz .LBB160_1
; %bb.3:                                ;   in Loop: Header=BB160_2 Depth=1
	ds_read_b32 v35, v34
	s_branch .LBB160_1
.LBB160_4:
	s_add_u32 s0, s8, s10
	s_addc_u32 s1, s9, s11
	v_lshlrev_b32_e32 v0, 2, v0
	v_mov_b32_e32 v1, s1
	v_add_co_u32_e32 v18, vcc, s0, v0
	v_addc_co_u32_e32 v19, vcc, 0, v1, vcc
	global_store_dword v0, v3, s[0:1]
	global_store_dword v0, v8, s[0:1] offset:1024
	global_store_dword v0, v9, s[0:1] offset:2048
	;; [unrolled: 1-line block ×3, first 2 shown]
	v_add_co_u32_e32 v0, vcc, 0x1000, v18
	v_addc_co_u32_e32 v1, vcc, 0, v19, vcc
	global_store_dword v[0:1], v5, off
	global_store_dword v[0:1], v16, off offset:1024
	global_store_dword v[0:1], v17, off offset:2048
	global_store_dword v[0:1], v12, off offset:3072
	v_add_co_u32_e32 v0, vcc, 0x2000, v18
	v_addc_co_u32_e32 v1, vcc, 0, v19, vcc
	global_store_dword v[0:1], v13, off
	global_store_dword v[0:1], v10, off offset:1024
	global_store_dword v[0:1], v11, off offset:2048
	global_store_dword v[0:1], v6, off offset:3072
	;; [unrolled: 6-line block ×3, first 2 shown]
	s_endpgm
	.section	.rodata,"a",@progbits
	.p2align	6, 0x0
	.amdhsa_kernel _Z6kernelI26subtract_left_partial_tileLj256ELj16ELb1EJPfPiS1_jEEvDpT3_
		.amdhsa_group_segment_fixed_size 2048
		.amdhsa_private_segment_fixed_size 0
		.amdhsa_kernarg_size 28
		.amdhsa_user_sgpr_count 6
		.amdhsa_user_sgpr_private_segment_buffer 1
		.amdhsa_user_sgpr_dispatch_ptr 0
		.amdhsa_user_sgpr_queue_ptr 0
		.amdhsa_user_sgpr_kernarg_segment_ptr 1
		.amdhsa_user_sgpr_dispatch_id 0
		.amdhsa_user_sgpr_flat_scratch_init 0
		.amdhsa_user_sgpr_kernarg_preload_length 0
		.amdhsa_user_sgpr_kernarg_preload_offset 0
		.amdhsa_user_sgpr_private_segment_size 0
		.amdhsa_uses_dynamic_stack 0
		.amdhsa_system_sgpr_private_segment_wavefront_offset 0
		.amdhsa_system_sgpr_workgroup_id_x 1
		.amdhsa_system_sgpr_workgroup_id_y 0
		.amdhsa_system_sgpr_workgroup_id_z 0
		.amdhsa_system_sgpr_workgroup_info 0
		.amdhsa_system_vgpr_workitem_id 0
		.amdhsa_next_free_vgpr 50
		.amdhsa_next_free_sgpr 14
		.amdhsa_accum_offset 52
		.amdhsa_reserve_vcc 1
		.amdhsa_reserve_flat_scratch 0
		.amdhsa_float_round_mode_32 0
		.amdhsa_float_round_mode_16_64 0
		.amdhsa_float_denorm_mode_32 3
		.amdhsa_float_denorm_mode_16_64 3
		.amdhsa_dx10_clamp 1
		.amdhsa_ieee_mode 1
		.amdhsa_fp16_overflow 0
		.amdhsa_tg_split 0
		.amdhsa_exception_fp_ieee_invalid_op 0
		.amdhsa_exception_fp_denorm_src 0
		.amdhsa_exception_fp_ieee_div_zero 0
		.amdhsa_exception_fp_ieee_overflow 0
		.amdhsa_exception_fp_ieee_underflow 0
		.amdhsa_exception_fp_ieee_inexact 0
		.amdhsa_exception_int_div_zero 0
	.end_amdhsa_kernel
	.section	.text._Z6kernelI26subtract_left_partial_tileLj256ELj16ELb1EJPfPiS1_jEEvDpT3_,"axG",@progbits,_Z6kernelI26subtract_left_partial_tileLj256ELj16ELb1EJPfPiS1_jEEvDpT3_,comdat
.Lfunc_end160:
	.size	_Z6kernelI26subtract_left_partial_tileLj256ELj16ELb1EJPfPiS1_jEEvDpT3_, .Lfunc_end160-_Z6kernelI26subtract_left_partial_tileLj256ELj16ELb1EJPfPiS1_jEEvDpT3_
                                        ; -- End function
	.section	.AMDGPU.csdata,"",@progbits
; Kernel info:
; codeLenInByte = 1144
; NumSgprs: 18
; NumVgprs: 50
; NumAgprs: 0
; TotalNumVgprs: 50
; ScratchSize: 0
; MemoryBound: 0
; FloatMode: 240
; IeeeMode: 1
; LDSByteSize: 2048 bytes/workgroup (compile time only)
; SGPRBlocks: 2
; VGPRBlocks: 6
; NumSGPRsForWavesPerEU: 18
; NumVGPRsForWavesPerEU: 50
; AccumOffset: 52
; Occupancy: 8
; WaveLimiterHint : 1
; COMPUTE_PGM_RSRC2:SCRATCH_EN: 0
; COMPUTE_PGM_RSRC2:USER_SGPR: 6
; COMPUTE_PGM_RSRC2:TRAP_HANDLER: 0
; COMPUTE_PGM_RSRC2:TGID_X_EN: 1
; COMPUTE_PGM_RSRC2:TGID_Y_EN: 0
; COMPUTE_PGM_RSRC2:TGID_Z_EN: 0
; COMPUTE_PGM_RSRC2:TIDIG_COMP_CNT: 0
; COMPUTE_PGM_RSRC3_GFX90A:ACCUM_OFFSET: 12
; COMPUTE_PGM_RSRC3_GFX90A:TG_SPLIT: 0
	.section	.text._Z6kernelI26subtract_left_partial_tileLj256ELj32ELb1EJPfPiS1_jEEvDpT3_,"axG",@progbits,_Z6kernelI26subtract_left_partial_tileLj256ELj32ELb1EJPfPiS1_jEEvDpT3_,comdat
	.protected	_Z6kernelI26subtract_left_partial_tileLj256ELj32ELb1EJPfPiS1_jEEvDpT3_ ; -- Begin function _Z6kernelI26subtract_left_partial_tileLj256ELj32ELb1EJPfPiS1_jEEvDpT3_
	.globl	_Z6kernelI26subtract_left_partial_tileLj256ELj32ELb1EJPfPiS1_jEEvDpT3_
	.p2align	8
	.type	_Z6kernelI26subtract_left_partial_tileLj256ELj32ELb1EJPfPiS1_jEEvDpT3_,@function
_Z6kernelI26subtract_left_partial_tileLj256ELj32ELb1EJPfPiS1_jEEvDpT3_: ; @_Z6kernelI26subtract_left_partial_tileLj256ELj32ELb1EJPfPiS1_jEEvDpT3_
; %bb.0:
	s_load_dwordx4 s[0:3], s[4:5], 0x0
	s_load_dwordx2 s[8:9], s[4:5], 0x10
	s_lshl_b32 s12, s6, 13
	s_mov_b32 s13, 0
	s_lshl_b64 s[10:11], s[12:13], 2
	s_waitcnt lgkmcnt(0)
	s_add_u32 s0, s0, s10
	s_addc_u32 s1, s1, s11
	v_lshlrev_b32_e32 v63, 2, v0
	v_mov_b32_e32 v1, s1
	v_add_co_u32_e32 v2, vcc, s0, v63
	v_addc_co_u32_e32 v1, vcc, 0, v1, vcc
	global_load_dword v3, v63, s[0:1]
	global_load_dword v6, v63, s[0:1] offset:1024
	global_load_dword v7, v63, s[0:1] offset:2048
	;; [unrolled: 1-line block ×3, first 2 shown]
	s_movk_i32 s0, 0x1000
	v_add_co_u32_e32 v26, vcc, s0, v2
	v_addc_co_u32_e32 v27, vcc, 0, v1, vcc
	s_movk_i32 s0, 0x2000
	v_add_co_u32_e32 v14, vcc, s0, v2
	v_addc_co_u32_e32 v15, vcc, 0, v1, vcc
	;; [unrolled: 3-line block ×5, first 2 shown]
	s_movk_i32 s0, 0x6000
	v_add_co_u32_e32 v40, vcc, s0, v2
	global_load_dword v5, v[14:15], off offset:-4096
	global_load_dword v19, v[14:15], off
	global_load_dword v16, v[14:15], off offset:1024
	global_load_dword v17, v[14:15], off offset:2048
	;; [unrolled: 1-line block ×3, first 2 shown]
	global_load_dword v13, v[36:37], off offset:-4096
	global_load_dword v11, v[36:37], off
	global_load_dword v8, v[36:37], off offset:1024
	v_addc_co_u32_e32 v41, vcc, 0, v1, vcc
	global_load_dword v32, v[26:27], off offset:1024
	global_load_dword v33, v[26:27], off offset:2048
	;; [unrolled: 1-line block ×10, first 2 shown]
	global_load_dword v29, v[40:41], off offset:-4096
	global_load_dword v23, v[40:41], off
	global_load_dword v20, v[40:41], off offset:1024
	global_load_dword v21, v[40:41], off offset:2048
	;; [unrolled: 1-line block ×3, first 2 shown]
	s_movk_i32 s0, 0x7000
	v_add_co_u32_e32 v34, vcc, s0, v2
	v_addc_co_u32_e32 v35, vcc, 0, v1, vcc
	global_load_dword v22, v[38:39], off offset:3072
	global_load_dword v15, v[34:35], off
	global_load_dword v27, v[34:35], off offset:1024
	global_load_dword v26, v[34:35], off offset:2048
	;; [unrolled: 1-line block ×3, first 2 shown]
	s_load_dword s12, s[4:5], 0x18
	s_mov_b32 s7, s13
	s_lshl_b64 s[0:1], s[6:7], 2
	s_add_u32 s0, s2, s0
	s_addc_u32 s1, s3, s1
	s_waitcnt lgkmcnt(0)
	v_cvt_f32_u32_e32 v1, s12
	s_load_dword s4, s[0:1], 0x0
	s_sub_i32 s0, 0, s12
	v_lshlrev_b32_e32 v64, 5, v0
	v_rcp_iflag_f32_e32 v1, v1
	v_or_b32_e32 v65, 31, v64
	v_or_b32_e32 v34, 30, v64
	;; [unrolled: 1-line block ×3, first 2 shown]
	v_mul_f32_e32 v1, 0x4f7ffffe, v1
	v_cvt_u32_f32_e32 v1, v1
	v_or_b32_e32 v36, 27, v64
	v_or_b32_e32 v37, 26, v64
	;; [unrolled: 1-line block ×3, first 2 shown]
	v_readfirstlane_b32 s1, v1
	s_mul_i32 s0, s0, s1
	s_mul_hi_u32 s0, s1, s0
	s_add_i32 s1, s1, s0
	s_lshr_b32 s0, s1, 19
	s_mul_i32 s1, s0, s12
	s_sub_i32 s1, 0x2000, s1
	s_add_i32 s2, s0, 1
	s_sub_i32 s3, s1, s12
	s_cmp_ge_u32 s1, s12
	s_cselect_b32 s0, s2, s0
	s_cselect_b32 s1, s3, s1
	s_add_i32 s2, s0, 1
	s_cmp_ge_u32 s1, s12
	s_cselect_b32 s5, s2, s0
	s_add_i32 s5, s5, 1
	v_or_b32_e32 v1, 29, v64
	v_or_b32_e32 v39, 24, v64
	;; [unrolled: 1-line block ×6, first 2 shown]
	v_cmp_ne_u32_e32 vcc, 0, v0
	v_add_u32_e32 v66, -4, v63
	s_max_u32 s6, s12, 1
	v_or_b32_e32 v44, 19, v64
	v_or_b32_e32 v45, 18, v64
	;; [unrolled: 1-line block ×19, first 2 shown]
	s_branch .LBB161_2
.LBB161_1:                              ;   in Loop: Header=BB161_2 Depth=1
	s_or_b64 exec, exec, s[0:1]
	v_mov_b32_e32 v68, v27
	v_mov_b32_e32 v69, v15
	v_pk_add_f32 v[68:69], v[26:27], v[68:69] neg_lo:[0,1] neg_hi:[0,1]
	v_cmp_gt_u32_e64 s[0:1], s4, v1
	v_cndmask_b32_e64 v69, v27, v69, s[0:1]
	v_cmp_gt_u32_e64 s[0:1], s4, v34
	v_mov_b32_e32 v70, v21
	v_mov_b32_e32 v71, v14
	v_cndmask_b32_e64 v68, v26, v68, s[0:1]
	v_pk_add_f32 v[70:71], v[14:15], v[70:71] neg_lo:[0,1] neg_hi:[0,1]
	v_cmp_gt_u32_e64 s[0:1], s4, v35
	v_cndmask_b32_e64 v71, v15, v71, s[0:1]
	v_cmp_gt_u32_e64 s[0:1], s4, v36
	v_mov_b32_e32 v72, v23
	v_mov_b32_e32 v73, v20
	v_cndmask_b32_e64 v70, v14, v70, s[0:1]
	;; [unrolled: 7-line block ×13, first 2 shown]
	v_pk_add_f32 v[94:95], v[4:5], v[94:95] neg_lo:[0,1] neg_hi:[0,1]
	v_cmp_gt_u32_e64 s[0:1], s4, v60
	v_mov_b32_e32 v96, v3
	v_mov_b32_e32 v97, v6
	v_cndmask_b32_e64 v94, v4, v94, s[0:1]
	v_pk_add_f32 v[96:97], v[6:7], v[96:97] neg_lo:[0,1] neg_hi:[0,1]
	v_cmp_gt_u32_e64 s[0:1], s4, v62
	v_cndmask_b32_e64 v96, v6, v96, s[0:1]
	v_pk_add_f32 v[14:15], v[14:15], v[70:71]
	v_sub_f32_e32 v70, v2, v26
	v_cmp_gt_u32_e64 s[0:1], s4, v65
	v_cmp_gt_u32_e64 s[2:3], s4, v59
	v_pk_add_f32 v[26:27], v[26:27], v[68:69]
	s_waitcnt lgkmcnt(0)
	v_sub_f32_e32 v67, v3, v67
	v_cndmask_b32_e64 v68, v2, v70, s[0:1]
	v_cmp_gt_u32_e64 s[0:1], s4, v64
	v_cndmask_b32_e64 v95, v5, v95, s[2:3]
	v_cmp_gt_u32_e64 s[2:3], s4, v61
	v_cndmask_b32_e64 v69, v3, v67, s[0:1]
	s_add_i32 s0, s5, s4
	v_cndmask_b32_e64 v97, v7, v97, s[2:3]
	s_and_b32 s4, s0, 0x1fff
	s_add_i32 s6, s6, -1
	v_pk_add_f32 v[6:7], v[6:7], v[96:97]
	v_pk_add_f32 v[4:5], v[4:5], v[94:95]
	;; [unrolled: 1-line block ×14, first 2 shown]
	s_cmp_lg_u32 s6, 0
	s_barrier
	s_cbranch_scc0 .LBB161_4
.LBB161_2:                              ; =>This Inner Loop Header: Depth=1
	v_mov_b32_e32 v67, 0x42f60000
	s_waitcnt vmcnt(0)
	ds_write_b32 v63, v2
	s_waitcnt lgkmcnt(0)
	s_barrier
	s_and_saveexec_b64 s[0:1], vcc
	s_cbranch_execz .LBB161_1
; %bb.3:                                ;   in Loop: Header=BB161_2 Depth=1
	ds_read_b32 v67, v66
	s_branch .LBB161_1
.LBB161_4:
	s_add_u32 s0, s8, s10
	s_addc_u32 s1, s9, s11
	v_lshlrev_b32_e32 v0, 2, v0
	v_mov_b32_e32 v1, s1
	v_add_co_u32_e32 v34, vcc, s0, v0
	v_addc_co_u32_e32 v35, vcc, 0, v1, vcc
	global_store_dword v0, v3, s[0:1]
	global_store_dword v0, v6, s[0:1] offset:1024
	global_store_dword v0, v7, s[0:1] offset:2048
	;; [unrolled: 1-line block ×3, first 2 shown]
	v_add_co_u32_e32 v0, vcc, 0x1000, v34
	v_addc_co_u32_e32 v1, vcc, 0, v35, vcc
	global_store_dword v[0:1], v5, off
	global_store_dword v[0:1], v32, off offset:1024
	global_store_dword v[0:1], v33, off offset:2048
	global_store_dword v[0:1], v18, off offset:3072
	v_add_co_u32_e32 v0, vcc, 0x2000, v34
	v_addc_co_u32_e32 v1, vcc, 0, v35, vcc
	global_store_dword v[0:1], v19, off
	global_store_dword v[0:1], v16, off offset:1024
	global_store_dword v[0:1], v17, off offset:2048
	global_store_dword v[0:1], v12, off offset:3072
	;; [unrolled: 6-line block ×7, first 2 shown]
	s_endpgm
	.section	.rodata,"a",@progbits
	.p2align	6, 0x0
	.amdhsa_kernel _Z6kernelI26subtract_left_partial_tileLj256ELj32ELb1EJPfPiS1_jEEvDpT3_
		.amdhsa_group_segment_fixed_size 2048
		.amdhsa_private_segment_fixed_size 0
		.amdhsa_kernarg_size 28
		.amdhsa_user_sgpr_count 6
		.amdhsa_user_sgpr_private_segment_buffer 1
		.amdhsa_user_sgpr_dispatch_ptr 0
		.amdhsa_user_sgpr_queue_ptr 0
		.amdhsa_user_sgpr_kernarg_segment_ptr 1
		.amdhsa_user_sgpr_dispatch_id 0
		.amdhsa_user_sgpr_flat_scratch_init 0
		.amdhsa_user_sgpr_kernarg_preload_length 0
		.amdhsa_user_sgpr_kernarg_preload_offset 0
		.amdhsa_user_sgpr_private_segment_size 0
		.amdhsa_uses_dynamic_stack 0
		.amdhsa_system_sgpr_private_segment_wavefront_offset 0
		.amdhsa_system_sgpr_workgroup_id_x 1
		.amdhsa_system_sgpr_workgroup_id_y 0
		.amdhsa_system_sgpr_workgroup_id_z 0
		.amdhsa_system_sgpr_workgroup_info 0
		.amdhsa_system_vgpr_workitem_id 0
		.amdhsa_next_free_vgpr 98
		.amdhsa_next_free_sgpr 14
		.amdhsa_accum_offset 100
		.amdhsa_reserve_vcc 1
		.amdhsa_reserve_flat_scratch 0
		.amdhsa_float_round_mode_32 0
		.amdhsa_float_round_mode_16_64 0
		.amdhsa_float_denorm_mode_32 3
		.amdhsa_float_denorm_mode_16_64 3
		.amdhsa_dx10_clamp 1
		.amdhsa_ieee_mode 1
		.amdhsa_fp16_overflow 0
		.amdhsa_tg_split 0
		.amdhsa_exception_fp_ieee_invalid_op 0
		.amdhsa_exception_fp_denorm_src 0
		.amdhsa_exception_fp_ieee_div_zero 0
		.amdhsa_exception_fp_ieee_overflow 0
		.amdhsa_exception_fp_ieee_underflow 0
		.amdhsa_exception_fp_ieee_inexact 0
		.amdhsa_exception_int_div_zero 0
	.end_amdhsa_kernel
	.section	.text._Z6kernelI26subtract_left_partial_tileLj256ELj32ELb1EJPfPiS1_jEEvDpT3_,"axG",@progbits,_Z6kernelI26subtract_left_partial_tileLj256ELj32ELb1EJPfPiS1_jEEvDpT3_,comdat
.Lfunc_end161:
	.size	_Z6kernelI26subtract_left_partial_tileLj256ELj32ELb1EJPfPiS1_jEEvDpT3_, .Lfunc_end161-_Z6kernelI26subtract_left_partial_tileLj256ELj32ELb1EJPfPiS1_jEEvDpT3_
                                        ; -- End function
	.section	.AMDGPU.csdata,"",@progbits
; Kernel info:
; codeLenInByte = 2008
; NumSgprs: 18
; NumVgprs: 98
; NumAgprs: 0
; TotalNumVgprs: 98
; ScratchSize: 0
; MemoryBound: 0
; FloatMode: 240
; IeeeMode: 1
; LDSByteSize: 2048 bytes/workgroup (compile time only)
; SGPRBlocks: 2
; VGPRBlocks: 12
; NumSGPRsForWavesPerEU: 18
; NumVGPRsForWavesPerEU: 98
; AccumOffset: 100
; Occupancy: 4
; WaveLimiterHint : 1
; COMPUTE_PGM_RSRC2:SCRATCH_EN: 0
; COMPUTE_PGM_RSRC2:USER_SGPR: 6
; COMPUTE_PGM_RSRC2:TRAP_HANDLER: 0
; COMPUTE_PGM_RSRC2:TGID_X_EN: 1
; COMPUTE_PGM_RSRC2:TGID_Y_EN: 0
; COMPUTE_PGM_RSRC2:TGID_Z_EN: 0
; COMPUTE_PGM_RSRC2:TIDIG_COMP_CNT: 0
; COMPUTE_PGM_RSRC3_GFX90A:ACCUM_OFFSET: 24
; COMPUTE_PGM_RSRC3_GFX90A:TG_SPLIT: 0
	.section	.text._Z6kernelI26subtract_left_partial_tileLj256ELj1ELb1EJPaPiS1_jEEvDpT3_,"axG",@progbits,_Z6kernelI26subtract_left_partial_tileLj256ELj1ELb1EJPaPiS1_jEEvDpT3_,comdat
	.protected	_Z6kernelI26subtract_left_partial_tileLj256ELj1ELb1EJPaPiS1_jEEvDpT3_ ; -- Begin function _Z6kernelI26subtract_left_partial_tileLj256ELj1ELb1EJPaPiS1_jEEvDpT3_
	.globl	_Z6kernelI26subtract_left_partial_tileLj256ELj1ELb1EJPaPiS1_jEEvDpT3_
	.p2align	8
	.type	_Z6kernelI26subtract_left_partial_tileLj256ELj1ELb1EJPaPiS1_jEEvDpT3_,@function
_Z6kernelI26subtract_left_partial_tileLj256ELj1ELb1EJPaPiS1_jEEvDpT3_: ; @_Z6kernelI26subtract_left_partial_tileLj256ELj1ELb1EJPaPiS1_jEEvDpT3_
; %bb.0:
	s_load_dwordx4 s[12:15], s[4:5], 0x0
	s_load_dwordx2 s[2:3], s[4:5], 0x10
	s_lshl_b32 s8, s6, 8
	s_load_dword s9, s[4:5], 0x18
	s_mov_b32 s7, 0
	s_waitcnt lgkmcnt(0)
	s_add_u32 s0, s12, s8
	s_addc_u32 s1, s13, 0
	global_load_ubyte v1, v0, s[0:1]
	v_cvt_f32_u32_e32 v2, s9
	s_lshl_b64 s[0:1], s[6:7], 2
	s_add_u32 s0, s14, s0
	s_addc_u32 s1, s15, s1
	v_rcp_iflag_f32_e32 v2, v2
	s_load_dword s4, s[0:1], 0x0
	s_sub_i32 s0, 0, s9
	v_cmp_ne_u32_e32 vcc, 0, v0
	v_mul_f32_e32 v2, 0x4f7ffffe, v2
	v_cvt_u32_f32_e32 v2, v2
	v_readfirstlane_b32 s1, v2
	s_mul_i32 s0, s0, s1
	s_mul_hi_u32 s0, s1, s0
	s_add_i32 s1, s1, s0
	s_lshr_b32 s0, s1, 24
	s_mul_i32 s1, s0, s9
	s_sub_i32 s1, 0x100, s1
	s_add_i32 s5, s0, 1
	s_sub_i32 s6, s1, s9
	s_cmp_ge_u32 s1, s9
	s_cselect_b32 s0, s5, s0
	s_cselect_b32 s1, s6, s1
	s_add_i32 s5, s0, 1
	s_cmp_ge_u32 s1, s9
	s_cselect_b32 s5, s5, s0
	s_add_i32 s5, s5, 1
	v_add_u32_e32 v2, -1, v0
	s_max_u32 s6, s9, 1
	s_branch .LBB162_2
.LBB162_1:                              ;   in Loop: Header=BB162_2 Depth=1
	s_or_b64 exec, exec, s[0:1]
	v_cmp_gt_u32_e64 s[0:1], s4, v0
	s_waitcnt lgkmcnt(0)
	v_cndmask_b32_e64 v3, 0, v3, s[0:1]
	s_add_i32 s0, s5, s4
	v_lshlrev_b16_e32 v1, 1, v1
	s_and_b32 s4, s0, 0xff
	s_add_i32 s6, s6, -1
	v_sub_u16_e32 v1, v1, v3
	s_cmp_lg_u32 s6, 0
	s_barrier
	s_cbranch_scc0 .LBB162_4
.LBB162_2:                              ; =>This Inner Loop Header: Depth=1
	v_mov_b32_e32 v3, 0x7b
	s_waitcnt vmcnt(0)
	ds_write_b8 v0, v1
	s_waitcnt lgkmcnt(0)
	s_barrier
	s_and_saveexec_b64 s[0:1], vcc
	s_cbranch_execz .LBB162_1
; %bb.3:                                ;   in Loop: Header=BB162_2 Depth=1
	ds_read_u8 v3, v2
	s_branch .LBB162_1
.LBB162_4:
	s_add_u32 s0, s2, s8
	s_addc_u32 s1, s3, 0
	v_mov_b32_e32 v3, s1
	v_add_co_u32_e32 v2, vcc, s0, v0
	v_addc_co_u32_e32 v3, vcc, 0, v3, vcc
	global_store_byte v[2:3], v1, off
	s_endpgm
	.section	.rodata,"a",@progbits
	.p2align	6, 0x0
	.amdhsa_kernel _Z6kernelI26subtract_left_partial_tileLj256ELj1ELb1EJPaPiS1_jEEvDpT3_
		.amdhsa_group_segment_fixed_size 512
		.amdhsa_private_segment_fixed_size 0
		.amdhsa_kernarg_size 28
		.amdhsa_user_sgpr_count 6
		.amdhsa_user_sgpr_private_segment_buffer 1
		.amdhsa_user_sgpr_dispatch_ptr 0
		.amdhsa_user_sgpr_queue_ptr 0
		.amdhsa_user_sgpr_kernarg_segment_ptr 1
		.amdhsa_user_sgpr_dispatch_id 0
		.amdhsa_user_sgpr_flat_scratch_init 0
		.amdhsa_user_sgpr_kernarg_preload_length 0
		.amdhsa_user_sgpr_kernarg_preload_offset 0
		.amdhsa_user_sgpr_private_segment_size 0
		.amdhsa_uses_dynamic_stack 0
		.amdhsa_system_sgpr_private_segment_wavefront_offset 0
		.amdhsa_system_sgpr_workgroup_id_x 1
		.amdhsa_system_sgpr_workgroup_id_y 0
		.amdhsa_system_sgpr_workgroup_id_z 0
		.amdhsa_system_sgpr_workgroup_info 0
		.amdhsa_system_vgpr_workitem_id 0
		.amdhsa_next_free_vgpr 4
		.amdhsa_next_free_sgpr 16
		.amdhsa_accum_offset 4
		.amdhsa_reserve_vcc 1
		.amdhsa_reserve_flat_scratch 0
		.amdhsa_float_round_mode_32 0
		.amdhsa_float_round_mode_16_64 0
		.amdhsa_float_denorm_mode_32 3
		.amdhsa_float_denorm_mode_16_64 3
		.amdhsa_dx10_clamp 1
		.amdhsa_ieee_mode 1
		.amdhsa_fp16_overflow 0
		.amdhsa_tg_split 0
		.amdhsa_exception_fp_ieee_invalid_op 0
		.amdhsa_exception_fp_denorm_src 0
		.amdhsa_exception_fp_ieee_div_zero 0
		.amdhsa_exception_fp_ieee_overflow 0
		.amdhsa_exception_fp_ieee_underflow 0
		.amdhsa_exception_fp_ieee_inexact 0
		.amdhsa_exception_int_div_zero 0
	.end_amdhsa_kernel
	.section	.text._Z6kernelI26subtract_left_partial_tileLj256ELj1ELb1EJPaPiS1_jEEvDpT3_,"axG",@progbits,_Z6kernelI26subtract_left_partial_tileLj256ELj1ELb1EJPaPiS1_jEEvDpT3_,comdat
.Lfunc_end162:
	.size	_Z6kernelI26subtract_left_partial_tileLj256ELj1ELb1EJPaPiS1_jEEvDpT3_, .Lfunc_end162-_Z6kernelI26subtract_left_partial_tileLj256ELj1ELb1EJPaPiS1_jEEvDpT3_
                                        ; -- End function
	.section	.AMDGPU.csdata,"",@progbits
; Kernel info:
; codeLenInByte = 320
; NumSgprs: 20
; NumVgprs: 4
; NumAgprs: 0
; TotalNumVgprs: 4
; ScratchSize: 0
; MemoryBound: 0
; FloatMode: 240
; IeeeMode: 1
; LDSByteSize: 512 bytes/workgroup (compile time only)
; SGPRBlocks: 2
; VGPRBlocks: 0
; NumSGPRsForWavesPerEU: 20
; NumVGPRsForWavesPerEU: 4
; AccumOffset: 4
; Occupancy: 8
; WaveLimiterHint : 0
; COMPUTE_PGM_RSRC2:SCRATCH_EN: 0
; COMPUTE_PGM_RSRC2:USER_SGPR: 6
; COMPUTE_PGM_RSRC2:TRAP_HANDLER: 0
; COMPUTE_PGM_RSRC2:TGID_X_EN: 1
; COMPUTE_PGM_RSRC2:TGID_Y_EN: 0
; COMPUTE_PGM_RSRC2:TGID_Z_EN: 0
; COMPUTE_PGM_RSRC2:TIDIG_COMP_CNT: 0
; COMPUTE_PGM_RSRC3_GFX90A:ACCUM_OFFSET: 0
; COMPUTE_PGM_RSRC3_GFX90A:TG_SPLIT: 0
	.section	.text._Z6kernelI26subtract_left_partial_tileLj256ELj3ELb1EJPaPiS1_jEEvDpT3_,"axG",@progbits,_Z6kernelI26subtract_left_partial_tileLj256ELj3ELb1EJPaPiS1_jEEvDpT3_,comdat
	.protected	_Z6kernelI26subtract_left_partial_tileLj256ELj3ELb1EJPaPiS1_jEEvDpT3_ ; -- Begin function _Z6kernelI26subtract_left_partial_tileLj256ELj3ELb1EJPaPiS1_jEEvDpT3_
	.globl	_Z6kernelI26subtract_left_partial_tileLj256ELj3ELb1EJPaPiS1_jEEvDpT3_
	.p2align	8
	.type	_Z6kernelI26subtract_left_partial_tileLj256ELj3ELb1EJPaPiS1_jEEvDpT3_,@function
_Z6kernelI26subtract_left_partial_tileLj256ELj3ELb1EJPaPiS1_jEEvDpT3_: ; @_Z6kernelI26subtract_left_partial_tileLj256ELj3ELb1EJPaPiS1_jEEvDpT3_
; %bb.0:
	s_load_dwordx4 s[0:3], s[4:5], 0x0
	s_load_dwordx2 s[8:9], s[4:5], 0x10
	s_mul_i32 s10, s6, 0x300
	s_load_dword s4, s[4:5], 0x18
	s_mov_b32 s7, 0
	s_waitcnt lgkmcnt(0)
	s_add_u32 s0, s0, s10
	s_addc_u32 s1, s1, 0
	global_load_ubyte v5, v0, s[0:1] offset:256
	global_load_ubyte v6, v0, s[0:1]
	global_load_ubyte v7, v0, s[0:1] offset:512
	v_cvt_f32_u32_e32 v4, s4
	s_lshl_b64 s[0:1], s[6:7], 2
	s_add_u32 s0, s2, s0
	s_addc_u32 s1, s3, s1
	v_rcp_iflag_f32_e32 v8, v4
	s_sub_i32 s3, 0, s4
	s_load_dword s2, s[0:1], 0x0
	v_mul_u32_u24_e32 v1, 3, v0
	v_mul_f32_e32 v8, 0x4f7ffffe, v8
	v_cvt_u32_f32_e32 v8, v8
	v_mad_u32_u24 v2, v0, 3, 2
	v_mad_u32_u24 v3, v0, 3, 1
	v_cmp_ne_u32_e32 vcc, 0, v0
	v_readfirstlane_b32 s0, v8
	s_mul_i32 s3, s3, s0
	s_mul_hi_u32 s1, s0, s3
	s_add_i32 s0, s0, s1
	s_mul_hi_u32 s0, s0, 0x300
	s_mul_i32 s1, s0, s4
	s_sub_i32 s1, 0x300, s1
	s_add_i32 s3, s0, 1
	s_sub_i32 s5, s1, s4
	s_cmp_ge_u32 s1, s4
	s_cselect_b32 s0, s3, s0
	s_cselect_b32 s1, s5, s1
	s_add_i32 s3, s0, 1
	s_cmp_ge_u32 s1, s4
	s_cselect_b32 s3, s3, s0
	v_add_u32_e32 v4, -1, v0
	s_add_i32 s3, s3, 1
	s_max_u32 s4, s4, 1
	s_waitcnt vmcnt(2)
	v_lshlrev_b16_e32 v5, 8, v5
	s_waitcnt vmcnt(1)
	v_or_b32_e32 v5, v6, v5
	v_and_b32_e32 v5, 0xffff, v5
	s_waitcnt vmcnt(0)
	v_lshl_or_b32 v5, v7, 16, v5
	s_branch .LBB163_2
.LBB163_1:                              ;   in Loop: Header=BB163_2 Depth=1
	s_or_b64 exec, exec, s[0:1]
	v_lshrrev_b32_e32 v9, 8, v5
	v_and_b32_e32 v8, 0xffffff00, v6
	v_sub_u16_e32 v10, v6, v9
	v_or_b32_sdwa v8, v10, v8 dst_sel:WORD_1 dst_unused:UNUSED_PAD src0_sel:BYTE_0 src1_sel:DWORD
	v_and_b32_e32 v10, 0xffff0000, v5
	v_cmp_gt_u32_e64 s[0:1], s2, v2
	v_cndmask_b32_e64 v10, v10, v8, s[0:1]
	v_and_b32_e32 v8, 0xffff, v5
	v_sub_u16_sdwa v11, v9, v5 dst_sel:BYTE_1 dst_unused:UNUSED_PAD src0_sel:DWORD src1_sel:DWORD
	v_cmp_gt_u32_e64 s[0:1], s2, v3
	v_cndmask_b32_e64 v8, v8, v11, s[0:1]
	v_cmp_gt_u32_e64 s[0:1], s2, v1
	v_or_b32_e32 v8, v8, v10
	s_waitcnt lgkmcnt(0)
	v_cndmask_b32_e64 v7, 0, v7, s[0:1]
	s_add_i32 s0, s3, s2
	v_lshrrev_b32_e32 v8, 8, v8
	s_mul_hi_u32 s1, s0, 0xaaaaaaab
	v_sub_u16_e32 v7, v5, v7
	v_add_u16_e32 v8, v8, v9
	v_add_u16_sdwa v6, v10, v6 dst_sel:DWORD dst_unused:UNUSED_PAD src0_sel:WORD_1 src1_sel:DWORD
	s_lshr_b32 s1, s1, 9
	v_add_u16_e32 v7, v7, v5
	v_lshlrev_b16_e32 v5, 8, v8
	v_and_b32_e32 v9, 0xff, v6
	s_mulk_i32 s1, 0x300
	v_or_b32_sdwa v5, v7, v5 dst_sel:DWORD dst_unused:UNUSED_PAD src0_sel:BYTE_0 src1_sel:DWORD
	v_lshlrev_b32_e32 v9, 16, v9
	s_sub_i32 s2, s0, s1
	s_add_i32 s4, s4, -1
	v_or_b32_sdwa v5, v5, v9 dst_sel:DWORD dst_unused:UNUSED_PAD src0_sel:WORD_0 src1_sel:DWORD
	s_cmp_lg_u32 s4, 0
	s_barrier
	s_cbranch_scc0 .LBB163_4
.LBB163_2:                              ; =>This Inner Loop Header: Depth=1
	v_lshrrev_b32_e32 v6, 16, v5
	v_mov_b32_e32 v7, 0x7b
	ds_write_b8 v0, v6
	s_waitcnt lgkmcnt(0)
	s_barrier
	s_and_saveexec_b64 s[0:1], vcc
	s_cbranch_execz .LBB163_1
; %bb.3:                                ;   in Loop: Header=BB163_2 Depth=1
	ds_read_u8 v7, v4
	s_branch .LBB163_1
.LBB163_4:
	s_add_u32 s0, s8, s10
	s_addc_u32 s1, s9, 0
	v_mov_b32_e32 v1, s1
	v_add_co_u32_e32 v0, vcc, s0, v0
	v_addc_co_u32_e32 v1, vcc, 0, v1, vcc
	global_store_byte v[0:1], v7, off
	global_store_byte v[0:1], v8, off offset:256
	global_store_byte v[0:1], v6, off offset:512
	s_endpgm
	.section	.rodata,"a",@progbits
	.p2align	6, 0x0
	.amdhsa_kernel _Z6kernelI26subtract_left_partial_tileLj256ELj3ELb1EJPaPiS1_jEEvDpT3_
		.amdhsa_group_segment_fixed_size 512
		.amdhsa_private_segment_fixed_size 0
		.amdhsa_kernarg_size 28
		.amdhsa_user_sgpr_count 6
		.amdhsa_user_sgpr_private_segment_buffer 1
		.amdhsa_user_sgpr_dispatch_ptr 0
		.amdhsa_user_sgpr_queue_ptr 0
		.amdhsa_user_sgpr_kernarg_segment_ptr 1
		.amdhsa_user_sgpr_dispatch_id 0
		.amdhsa_user_sgpr_flat_scratch_init 0
		.amdhsa_user_sgpr_kernarg_preload_length 0
		.amdhsa_user_sgpr_kernarg_preload_offset 0
		.amdhsa_user_sgpr_private_segment_size 0
		.amdhsa_uses_dynamic_stack 0
		.amdhsa_system_sgpr_private_segment_wavefront_offset 0
		.amdhsa_system_sgpr_workgroup_id_x 1
		.amdhsa_system_sgpr_workgroup_id_y 0
		.amdhsa_system_sgpr_workgroup_id_z 0
		.amdhsa_system_sgpr_workgroup_info 0
		.amdhsa_system_vgpr_workitem_id 0
		.amdhsa_next_free_vgpr 12
		.amdhsa_next_free_sgpr 11
		.amdhsa_accum_offset 12
		.amdhsa_reserve_vcc 1
		.amdhsa_reserve_flat_scratch 0
		.amdhsa_float_round_mode_32 0
		.amdhsa_float_round_mode_16_64 0
		.amdhsa_float_denorm_mode_32 3
		.amdhsa_float_denorm_mode_16_64 3
		.amdhsa_dx10_clamp 1
		.amdhsa_ieee_mode 1
		.amdhsa_fp16_overflow 0
		.amdhsa_tg_split 0
		.amdhsa_exception_fp_ieee_invalid_op 0
		.amdhsa_exception_fp_denorm_src 0
		.amdhsa_exception_fp_ieee_div_zero 0
		.amdhsa_exception_fp_ieee_overflow 0
		.amdhsa_exception_fp_ieee_underflow 0
		.amdhsa_exception_fp_ieee_inexact 0
		.amdhsa_exception_int_div_zero 0
	.end_amdhsa_kernel
	.section	.text._Z6kernelI26subtract_left_partial_tileLj256ELj3ELb1EJPaPiS1_jEEvDpT3_,"axG",@progbits,_Z6kernelI26subtract_left_partial_tileLj256ELj3ELb1EJPaPiS1_jEEvDpT3_,comdat
.Lfunc_end163:
	.size	_Z6kernelI26subtract_left_partial_tileLj256ELj3ELb1EJPaPiS1_jEEvDpT3_, .Lfunc_end163-_Z6kernelI26subtract_left_partial_tileLj256ELj3ELb1EJPaPiS1_jEEvDpT3_
                                        ; -- End function
	.section	.AMDGPU.csdata,"",@progbits
; Kernel info:
; codeLenInByte = 560
; NumSgprs: 15
; NumVgprs: 12
; NumAgprs: 0
; TotalNumVgprs: 12
; ScratchSize: 0
; MemoryBound: 0
; FloatMode: 240
; IeeeMode: 1
; LDSByteSize: 512 bytes/workgroup (compile time only)
; SGPRBlocks: 1
; VGPRBlocks: 1
; NumSGPRsForWavesPerEU: 15
; NumVGPRsForWavesPerEU: 12
; AccumOffset: 12
; Occupancy: 8
; WaveLimiterHint : 1
; COMPUTE_PGM_RSRC2:SCRATCH_EN: 0
; COMPUTE_PGM_RSRC2:USER_SGPR: 6
; COMPUTE_PGM_RSRC2:TRAP_HANDLER: 0
; COMPUTE_PGM_RSRC2:TGID_X_EN: 1
; COMPUTE_PGM_RSRC2:TGID_Y_EN: 0
; COMPUTE_PGM_RSRC2:TGID_Z_EN: 0
; COMPUTE_PGM_RSRC2:TIDIG_COMP_CNT: 0
; COMPUTE_PGM_RSRC3_GFX90A:ACCUM_OFFSET: 2
; COMPUTE_PGM_RSRC3_GFX90A:TG_SPLIT: 0
	.section	.text._Z6kernelI26subtract_left_partial_tileLj256ELj4ELb1EJPaPiS1_jEEvDpT3_,"axG",@progbits,_Z6kernelI26subtract_left_partial_tileLj256ELj4ELb1EJPaPiS1_jEEvDpT3_,comdat
	.protected	_Z6kernelI26subtract_left_partial_tileLj256ELj4ELb1EJPaPiS1_jEEvDpT3_ ; -- Begin function _Z6kernelI26subtract_left_partial_tileLj256ELj4ELb1EJPaPiS1_jEEvDpT3_
	.globl	_Z6kernelI26subtract_left_partial_tileLj256ELj4ELb1EJPaPiS1_jEEvDpT3_
	.p2align	8
	.type	_Z6kernelI26subtract_left_partial_tileLj256ELj4ELb1EJPaPiS1_jEEvDpT3_,@function
_Z6kernelI26subtract_left_partial_tileLj256ELj4ELb1EJPaPiS1_jEEvDpT3_: ; @_Z6kernelI26subtract_left_partial_tileLj256ELj4ELb1EJPaPiS1_jEEvDpT3_
; %bb.0:
	s_load_dwordx4 s[0:3], s[4:5], 0x0
	s_load_dwordx2 s[8:9], s[4:5], 0x10
	s_lshl_b32 s10, s6, 10
	s_load_dword s4, s[4:5], 0x18
	s_mov_b32 s7, 0
	s_waitcnt lgkmcnt(0)
	s_add_u32 s0, s0, s10
	s_addc_u32 s1, s1, 0
	global_load_ubyte v6, v0, s[0:1] offset:256
	global_load_ubyte v7, v0, s[0:1] offset:768
	global_load_ubyte v8, v0, s[0:1]
	global_load_ubyte v9, v0, s[0:1] offset:512
	v_cvt_f32_u32_e32 v5, s4
	s_lshl_b64 s[0:1], s[6:7], 2
	s_add_u32 s0, s2, s0
	s_addc_u32 s1, s3, s1
	v_rcp_iflag_f32_e32 v10, v5
	s_sub_i32 s3, 0, s4
	s_load_dword s2, s[0:1], 0x0
	v_lshlrev_b32_e32 v1, 2, v0
	v_mul_f32_e32 v10, 0x4f7ffffe, v10
	v_cvt_u32_f32_e32 v10, v10
	v_cmp_ne_u32_e32 vcc, 0, v0
	v_add_u32_e32 v2, -1, v0
	v_or_b32_e32 v3, 3, v1
	v_readfirstlane_b32 s0, v10
	s_mul_i32 s3, s3, s0
	s_mul_hi_u32 s1, s0, s3
	s_add_i32 s0, s0, s1
	s_lshr_b32 s0, s0, 22
	s_mul_i32 s1, s0, s4
	s_sub_i32 s1, 0x400, s1
	s_add_i32 s3, s0, 1
	s_sub_i32 s5, s1, s4
	s_cmp_ge_u32 s1, s4
	s_cselect_b32 s0, s3, s0
	s_cselect_b32 s1, s5, s1
	s_add_i32 s3, s0, 1
	s_cmp_ge_u32 s1, s4
	s_cselect_b32 s3, s3, s0
	v_or_b32_e32 v4, 2, v1
	v_or_b32_e32 v5, 1, v1
	s_add_i32 s3, s3, 1
	s_max_u32 s4, s4, 1
	s_waitcnt vmcnt(3)
	v_lshlrev_b16_e32 v6, 8, v6
	s_waitcnt vmcnt(2)
	v_lshlrev_b16_e32 v7, 8, v7
	s_waitcnt vmcnt(1)
	v_or_b32_e32 v6, v8, v6
	s_waitcnt vmcnt(0)
	v_or_b32_sdwa v7, v9, v7 dst_sel:WORD_1 dst_unused:UNUSED_PAD src0_sel:DWORD src1_sel:DWORD
	v_or_b32_sdwa v6, v6, v7 dst_sel:DWORD dst_unused:UNUSED_PAD src0_sel:WORD_0 src1_sel:DWORD
	s_branch .LBB164_2
.LBB164_1:                              ;   in Loop: Header=BB164_2 Depth=1
	s_or_b64 exec, exec, s[0:1]
	v_lshrrev_b32_e32 v10, 16, v6
	v_sub_u16_sdwa v9, v7, v10 dst_sel:BYTE_1 dst_unused:UNUSED_PAD src0_sel:DWORD src1_sel:DWORD
	v_cmp_gt_u32_e64 s[0:1], s2, v3
	v_cndmask_b32_e64 v9, v10, v9, s[0:1]
	v_lshrrev_b32_e32 v11, 8, v6
	v_and_b32_e32 v9, 0xffffff00, v9
	v_sub_u16_e32 v12, v10, v11
	v_or_b32_sdwa v12, v12, v9 dst_sel:DWORD dst_unused:UNUSED_PAD src0_sel:BYTE_0 src1_sel:DWORD
	v_or_b32_sdwa v9, v10, v9 dst_sel:DWORD dst_unused:UNUSED_PAD src0_sel:BYTE_0 src1_sel:DWORD
	v_cmp_gt_u32_e64 s[0:1], s2, v4
	v_cndmask_b32_e64 v12, v9, v12, s[0:1]
	v_and_b32_e32 v9, 0xffff, v6
	v_sub_u16_sdwa v13, v11, v6 dst_sel:BYTE_1 dst_unused:UNUSED_PAD src0_sel:DWORD src1_sel:DWORD
	v_cmp_gt_u32_e64 s[0:1], s2, v5
	v_cndmask_b32_e64 v9, v9, v13, s[0:1]
	v_lshl_or_b32 v9, v12, 16, v9
	v_cmp_gt_u32_e64 s[0:1], s2, v1
	s_waitcnt lgkmcnt(0)
	v_cndmask_b32_e64 v8, 0, v8, s[0:1]
	v_lshrrev_b32_e32 v9, 8, v9
	v_sub_u16_e32 v8, v6, v8
	v_add_u16_e32 v9, v9, v11
	v_add_u16_sdwa v7, v12, v7 dst_sel:DWORD dst_unused:UNUSED_PAD src0_sel:BYTE_1 src1_sel:DWORD
	v_add_u16_e32 v8, v8, v6
	v_add_u16_e32 v10, v12, v10
	v_lshlrev_b16_e32 v6, 8, v7
	v_lshlrev_b16_e32 v11, 8, v9
	s_add_i32 s0, s3, s2
	v_or_b32_sdwa v6, v10, v6 dst_sel:WORD_1 dst_unused:UNUSED_PAD src0_sel:BYTE_0 src1_sel:DWORD
	v_or_b32_sdwa v11, v8, v11 dst_sel:DWORD dst_unused:UNUSED_PAD src0_sel:BYTE_0 src1_sel:DWORD
	s_and_b32 s2, s0, 0x3ff
	s_add_i32 s4, s4, -1
	v_or_b32_sdwa v6, v11, v6 dst_sel:DWORD dst_unused:UNUSED_PAD src0_sel:WORD_0 src1_sel:DWORD
	s_cmp_lg_u32 s4, 0
	s_barrier
	s_cbranch_scc0 .LBB164_4
.LBB164_2:                              ; =>This Inner Loop Header: Depth=1
	v_lshrrev_b32_e32 v7, 24, v6
	v_mov_b32_e32 v8, 0x7b
	ds_write_b8 v0, v7
	s_waitcnt lgkmcnt(0)
	s_barrier
	s_and_saveexec_b64 s[0:1], vcc
	s_cbranch_execz .LBB164_1
; %bb.3:                                ;   in Loop: Header=BB164_2 Depth=1
	ds_read_u8 v8, v2
	s_branch .LBB164_1
.LBB164_4:
	s_add_u32 s0, s8, s10
	s_addc_u32 s1, s9, 0
	v_mov_b32_e32 v1, s1
	v_add_co_u32_e32 v0, vcc, s0, v0
	v_addc_co_u32_e32 v1, vcc, 0, v1, vcc
	global_store_byte v[0:1], v8, off
	global_store_byte v[0:1], v9, off offset:256
	global_store_byte v[0:1], v10, off offset:512
	;; [unrolled: 1-line block ×3, first 2 shown]
	s_endpgm
	.section	.rodata,"a",@progbits
	.p2align	6, 0x0
	.amdhsa_kernel _Z6kernelI26subtract_left_partial_tileLj256ELj4ELb1EJPaPiS1_jEEvDpT3_
		.amdhsa_group_segment_fixed_size 512
		.amdhsa_private_segment_fixed_size 0
		.amdhsa_kernarg_size 28
		.amdhsa_user_sgpr_count 6
		.amdhsa_user_sgpr_private_segment_buffer 1
		.amdhsa_user_sgpr_dispatch_ptr 0
		.amdhsa_user_sgpr_queue_ptr 0
		.amdhsa_user_sgpr_kernarg_segment_ptr 1
		.amdhsa_user_sgpr_dispatch_id 0
		.amdhsa_user_sgpr_flat_scratch_init 0
		.amdhsa_user_sgpr_kernarg_preload_length 0
		.amdhsa_user_sgpr_kernarg_preload_offset 0
		.amdhsa_user_sgpr_private_segment_size 0
		.amdhsa_uses_dynamic_stack 0
		.amdhsa_system_sgpr_private_segment_wavefront_offset 0
		.amdhsa_system_sgpr_workgroup_id_x 1
		.amdhsa_system_sgpr_workgroup_id_y 0
		.amdhsa_system_sgpr_workgroup_id_z 0
		.amdhsa_system_sgpr_workgroup_info 0
		.amdhsa_system_vgpr_workitem_id 0
		.amdhsa_next_free_vgpr 14
		.amdhsa_next_free_sgpr 11
		.amdhsa_accum_offset 16
		.amdhsa_reserve_vcc 1
		.amdhsa_reserve_flat_scratch 0
		.amdhsa_float_round_mode_32 0
		.amdhsa_float_round_mode_16_64 0
		.amdhsa_float_denorm_mode_32 3
		.amdhsa_float_denorm_mode_16_64 3
		.amdhsa_dx10_clamp 1
		.amdhsa_ieee_mode 1
		.amdhsa_fp16_overflow 0
		.amdhsa_tg_split 0
		.amdhsa_exception_fp_ieee_invalid_op 0
		.amdhsa_exception_fp_denorm_src 0
		.amdhsa_exception_fp_ieee_div_zero 0
		.amdhsa_exception_fp_ieee_overflow 0
		.amdhsa_exception_fp_ieee_underflow 0
		.amdhsa_exception_fp_ieee_inexact 0
		.amdhsa_exception_int_div_zero 0
	.end_amdhsa_kernel
	.section	.text._Z6kernelI26subtract_left_partial_tileLj256ELj4ELb1EJPaPiS1_jEEvDpT3_,"axG",@progbits,_Z6kernelI26subtract_left_partial_tileLj256ELj4ELb1EJPaPiS1_jEEvDpT3_,comdat
.Lfunc_end164:
	.size	_Z6kernelI26subtract_left_partial_tileLj256ELj4ELb1EJPaPiS1_jEEvDpT3_, .Lfunc_end164-_Z6kernelI26subtract_left_partial_tileLj256ELj4ELb1EJPaPiS1_jEEvDpT3_
                                        ; -- End function
	.section	.AMDGPU.csdata,"",@progbits
; Kernel info:
; codeLenInByte = 596
; NumSgprs: 15
; NumVgprs: 14
; NumAgprs: 0
; TotalNumVgprs: 14
; ScratchSize: 0
; MemoryBound: 0
; FloatMode: 240
; IeeeMode: 1
; LDSByteSize: 512 bytes/workgroup (compile time only)
; SGPRBlocks: 1
; VGPRBlocks: 1
; NumSGPRsForWavesPerEU: 15
; NumVGPRsForWavesPerEU: 14
; AccumOffset: 16
; Occupancy: 8
; WaveLimiterHint : 1
; COMPUTE_PGM_RSRC2:SCRATCH_EN: 0
; COMPUTE_PGM_RSRC2:USER_SGPR: 6
; COMPUTE_PGM_RSRC2:TRAP_HANDLER: 0
; COMPUTE_PGM_RSRC2:TGID_X_EN: 1
; COMPUTE_PGM_RSRC2:TGID_Y_EN: 0
; COMPUTE_PGM_RSRC2:TGID_Z_EN: 0
; COMPUTE_PGM_RSRC2:TIDIG_COMP_CNT: 0
; COMPUTE_PGM_RSRC3_GFX90A:ACCUM_OFFSET: 3
; COMPUTE_PGM_RSRC3_GFX90A:TG_SPLIT: 0
	.section	.text._Z6kernelI26subtract_left_partial_tileLj256ELj8ELb1EJPaPiS1_jEEvDpT3_,"axG",@progbits,_Z6kernelI26subtract_left_partial_tileLj256ELj8ELb1EJPaPiS1_jEEvDpT3_,comdat
	.protected	_Z6kernelI26subtract_left_partial_tileLj256ELj8ELb1EJPaPiS1_jEEvDpT3_ ; -- Begin function _Z6kernelI26subtract_left_partial_tileLj256ELj8ELb1EJPaPiS1_jEEvDpT3_
	.globl	_Z6kernelI26subtract_left_partial_tileLj256ELj8ELb1EJPaPiS1_jEEvDpT3_
	.p2align	8
	.type	_Z6kernelI26subtract_left_partial_tileLj256ELj8ELb1EJPaPiS1_jEEvDpT3_,@function
_Z6kernelI26subtract_left_partial_tileLj256ELj8ELb1EJPaPiS1_jEEvDpT3_: ; @_Z6kernelI26subtract_left_partial_tileLj256ELj8ELb1EJPaPiS1_jEEvDpT3_
; %bb.0:
	s_load_dwordx4 s[0:3], s[4:5], 0x0
	s_load_dwordx2 s[8:9], s[4:5], 0x10
	s_lshl_b32 s10, s6, 11
	s_load_dword s4, s[4:5], 0x18
	s_mov_b32 s7, 0
	s_waitcnt lgkmcnt(0)
	s_add_u32 s0, s0, s10
	s_addc_u32 s1, s1, 0
	global_load_ubyte v2, v0, s[0:1] offset:256
	global_load_ubyte v3, v0, s[0:1] offset:768
	;; [unrolled: 1-line block ×4, first 2 shown]
	global_load_ubyte v14, v0, s[0:1]
	global_load_ubyte v15, v0, s[0:1] offset:512
	global_load_ubyte v16, v0, s[0:1] offset:1024
	;; [unrolled: 1-line block ×3, first 2 shown]
	v_cvt_f32_u32_e32 v11, s4
	s_lshl_b64 s[0:1], s[6:7], 2
	s_add_u32 s0, s2, s0
	s_addc_u32 s1, s3, s1
	v_rcp_iflag_f32_e32 v18, v11
	s_sub_i32 s3, 0, s4
	s_load_dword s2, s[0:1], 0x0
	v_lshlrev_b32_e32 v1, 3, v0
	v_mul_f32_e32 v18, 0x4f7ffffe, v18
	v_cvt_u32_f32_e32 v18, v18
	s_mov_b32 s11, 0xffff
	s_movk_i32 s12, 0xff
	s_movk_i32 s13, 0xff00
	v_readfirstlane_b32 s0, v18
	s_mul_i32 s3, s3, s0
	s_mul_hi_u32 s1, s0, s3
	s_add_i32 s0, s0, s1
	s_lshr_b32 s0, s0, 21
	s_mul_i32 s1, s0, s4
	s_sub_i32 s1, 0x800, s1
	s_add_i32 s3, s0, 1
	s_sub_i32 s5, s1, s4
	s_cmp_ge_u32 s1, s4
	s_cselect_b32 s0, s3, s0
	s_cselect_b32 s1, s5, s1
	s_add_i32 s3, s0, 1
	s_cmp_ge_u32 s1, s4
	s_cselect_b32 s0, s3, s0
	v_cmp_ne_u32_e32 vcc, 0, v0
	v_add_u32_e32 v4, -1, v0
	v_or_b32_e32 v5, 7, v1
	v_or_b32_e32 v6, 6, v1
	;; [unrolled: 1-line block ×7, first 2 shown]
	s_max_u32 s3, s4, 1
	s_add_i32 s4, s0, 1
	s_mov_b32 s5, 0xffff0000
                                        ; implicit-def: $vgpr22
                                        ; implicit-def: $vgpr25
                                        ; implicit-def: $vgpr19
                                        ; implicit-def: $vgpr27
                                        ; implicit-def: $vgpr26
	s_waitcnt vmcnt(7)
	v_lshlrev_b16_e32 v2, 8, v2
	s_waitcnt vmcnt(6)
	v_lshlrev_b16_e32 v3, 8, v3
	;; [unrolled: 2-line block ×4, first 2 shown]
	s_waitcnt vmcnt(3)
	v_or_b32_e32 v2, v14, v2
	s_waitcnt vmcnt(2)
	v_or_b32_sdwa v3, v15, v3 dst_sel:WORD_1 dst_unused:UNUSED_PAD src0_sel:DWORD src1_sel:DWORD
	s_waitcnt vmcnt(1)
	v_or_b32_e32 v12, v16, v12
	s_waitcnt vmcnt(0)
	v_or_b32_sdwa v13, v17, v13 dst_sel:WORD_1 dst_unused:UNUSED_PAD src0_sel:DWORD src1_sel:DWORD
	v_or_b32_sdwa v2, v2, v3 dst_sel:DWORD dst_unused:UNUSED_PAD src0_sel:WORD_0 src1_sel:DWORD
	v_or_b32_sdwa v3, v12, v13 dst_sel:DWORD dst_unused:UNUSED_PAD src0_sel:WORD_0 src1_sel:DWORD
                                        ; implicit-def: $vgpr16
                                        ; implicit-def: $vgpr13
                                        ; implicit-def: $vgpr14
	s_branch .LBB165_2
.LBB165_1:                              ;   in Loop: Header=BB165_2 Depth=1
	s_or_b64 exec, exec, s[0:1]
	v_lshlrev_b16_e32 v13, 8, v13
	v_lshlrev_b16_e32 v14, 8, v14
	;; [unrolled: 1-line block ×4, first 2 shown]
	v_or_b32_sdwa v13, v27, v13 dst_sel:DWORD dst_unused:UNUSED_PAD src0_sel:BYTE_0 src1_sel:DWORD
	v_or_b32_sdwa v14, v26, v14 dst_sel:WORD_1 dst_unused:UNUSED_PAD src0_sel:BYTE_0 src1_sel:DWORD
	v_or_b32_sdwa v17, v22, v17 dst_sel:DWORD dst_unused:UNUSED_PAD src0_sel:BYTE_0 src1_sel:DWORD
	v_or_b32_sdwa v16, v16, v18 dst_sel:WORD_1 dst_unused:UNUSED_PAD src0_sel:BYTE_0 src1_sel:DWORD
	v_or_b32_sdwa v13, v13, v14 dst_sel:DWORD dst_unused:UNUSED_PAD src0_sel:WORD_0 src1_sel:DWORD
	v_or_b32_sdwa v18, v17, v16 dst_sel:DWORD dst_unused:UNUSED_PAD src0_sel:WORD_0 src1_sel:DWORD
	v_and_b32_sdwa v14, v13, s12 dst_sel:DWORD dst_unused:UNUSED_PAD src0_sel:WORD_1 src1_sel:DWORD
	v_and_b32_sdwa v16, v3, s13 dst_sel:DWORD dst_unused:UNUSED_PAD src0_sel:WORD_1 src1_sel:DWORD
	v_sub_u16_sdwa v20, v12, v3 dst_sel:BYTE_1 dst_unused:UNUSED_PAD src0_sel:DWORD src1_sel:WORD_1
	v_or_b32_e32 v16, v14, v16
	v_or_b32_e32 v14, v14, v20
	v_cmp_gt_u32_e64 s[0:1], s2, v5
	v_cndmask_b32_e64 v14, v16, v14, s[0:1]
	v_lshrrev_b32_e32 v24, 8, v3
	v_and_b32_sdwa v17, v3, s12 dst_sel:DWORD dst_unused:UNUSED_PAD src0_sel:WORD_1 src1_sel:DWORD
	v_and_b32_e32 v14, 0xffffff00, v14
	v_sub_u16_sdwa v16, v3, v24 dst_sel:DWORD dst_unused:UNUSED_PAD src0_sel:WORD_1 src1_sel:DWORD
	v_or_b32_sdwa v16, v16, v14 dst_sel:DWORD dst_unused:UNUSED_PAD src0_sel:BYTE_0 src1_sel:DWORD
	v_or_b32_e32 v14, v17, v14
	v_cmp_gt_u32_e64 s[0:1], s2, v6
	v_cndmask_b32_e64 v28, v14, v16, s[0:1]
	v_lshlrev_b32_e32 v14, 16, v28
	v_and_b32_e32 v16, 0xffffff00, v3
	v_sub_u16_sdwa v17, v24, v3 dst_sel:BYTE_1 dst_unused:UNUSED_PAD src0_sel:DWORD src1_sel:DWORD
	v_and_or_b32 v14, v13, s11, v14
	v_or_b32_sdwa v16, v13, v16 dst_sel:DWORD dst_unused:UNUSED_PAD src0_sel:BYTE_0 src1_sel:DWORD
	v_or_b32_sdwa v13, v13, v17 dst_sel:DWORD dst_unused:UNUSED_PAD src0_sel:BYTE_0 src1_sel:DWORD
	v_and_b32_e32 v16, 0xffff, v16
	v_and_b32_e32 v13, 0xffff, v13
	v_cmp_gt_u32_e64 s[0:1], s2, v7
	v_cndmask_b32_e64 v13, v16, v13, s[0:1]
	v_lshrrev_b64 v[16:17], 24, v[2:3]
	v_and_b32_e32 v13, 0xffffff00, v13
	v_sub_u16_e32 v17, v3, v16
	v_or_b32_sdwa v17, v17, v13 dst_sel:DWORD dst_unused:UNUSED_PAD src0_sel:BYTE_0 src1_sel:DWORD
	v_or_b32_sdwa v13, v3, v13 dst_sel:DWORD dst_unused:UNUSED_PAD src0_sel:BYTE_0 src1_sel:DWORD
	v_lshrrev_b32_e32 v19, 16, v2
	v_and_b32_e32 v13, 0xffff, v13
	v_and_b32_e32 v17, 0xffff, v17
	v_cmp_gt_u32_e64 s[0:1], s2, v8
	v_cndmask_b32_e64 v29, v13, v17, s[0:1]
	v_sub_u16_sdwa v13, v16, v19 dst_sel:BYTE_1 dst_unused:UNUSED_PAD src0_sel:DWORD src1_sel:DWORD
	v_cmp_gt_u32_e64 s[0:1], s2, v9
	v_and_or_b32 v23, v14, s5, v29
	v_cndmask_b32_e64 v13, v19, v13, s[0:1]
	v_lshrrev_b32_e32 v14, 8, v2
	v_and_b32_e32 v13, 0xffffff00, v13
	v_sub_u16_e32 v17, v19, v14
	v_or_b32_sdwa v17, v17, v13 dst_sel:DWORD dst_unused:UNUSED_PAD src0_sel:BYTE_0 src1_sel:DWORD
	v_or_b32_sdwa v13, v19, v13 dst_sel:DWORD dst_unused:UNUSED_PAD src0_sel:BYTE_0 src1_sel:DWORD
	v_cmp_gt_u32_e64 s[0:1], s2, v10
	v_cndmask_b32_e64 v25, v13, v17, s[0:1]
	v_and_b32_e32 v13, 0xffffff00, v2
	v_sub_u16_sdwa v17, v14, v2 dst_sel:BYTE_1 dst_unused:UNUSED_PAD src0_sel:DWORD src1_sel:DWORD
	v_or_b32_sdwa v13, v18, v13 dst_sel:DWORD dst_unused:UNUSED_PAD src0_sel:BYTE_0 src1_sel:DWORD
	v_or_b32_sdwa v17, v18, v17 dst_sel:DWORD dst_unused:UNUSED_PAD src0_sel:BYTE_0 src1_sel:DWORD
	v_and_b32_e32 v13, 0xffff, v13
	v_and_b32_e32 v17, 0xffff, v17
	v_cmp_gt_u32_e64 s[0:1], s2, v11
	v_cndmask_b32_e64 v13, v13, v17, s[0:1]
	v_lshl_or_b32 v22, v25, 16, v13
	v_cmp_gt_u32_e64 s[0:1], s2, v1
	s_waitcnt lgkmcnt(0)
	v_cndmask_b32_e64 v13, 0, v15, s[0:1]
	v_lshrrev_b32_e32 v31, 8, v22
	v_lshrrev_b64 v[26:27], 24, v[22:23]
	v_sub_u16_e32 v30, v2, v13
	v_add_u16_e32 v17, v31, v14
	v_add_u16_e32 v20, v26, v16
	v_lshrrev_b32_e32 v13, 8, v23
	v_add_u16_e32 v15, v30, v2
	v_add_u16_e32 v18, v25, v19
	v_add_u16_e32 v21, v29, v3
	v_add_u16_e32 v23, v13, v24
	v_add_u16_sdwa v24, v28, v3 dst_sel:DWORD dst_unused:UNUSED_PAD src0_sel:DWORD src1_sel:WORD_1
	v_bfe_u32 v14, v28, 8, 8
	v_lshlrev_b16_e32 v2, 8, v20
	v_lshlrev_b16_e32 v3, 8, v17
	v_add_u16_e32 v12, v14, v12
	v_or_b32_sdwa v2, v18, v2 dst_sel:WORD_1 dst_unused:UNUSED_PAD src0_sel:BYTE_0 src1_sel:DWORD
	v_or_b32_sdwa v3, v15, v3 dst_sel:DWORD dst_unused:UNUSED_PAD src0_sel:BYTE_0 src1_sel:DWORD
	v_or_b32_sdwa v2, v3, v2 dst_sel:DWORD dst_unused:UNUSED_PAD src0_sel:WORD_0 src1_sel:DWORD
	v_lshlrev_b16_e32 v3, 8, v23
	v_lshlrev_b16_e32 v16, 8, v12
	v_or_b32_sdwa v3, v21, v3 dst_sel:DWORD dst_unused:UNUSED_PAD src0_sel:BYTE_0 src1_sel:DWORD
	v_or_b32_sdwa v16, v24, v16 dst_sel:WORD_1 dst_unused:UNUSED_PAD src0_sel:BYTE_0 src1_sel:DWORD
	v_or_b32_sdwa v3, v3, v16 dst_sel:DWORD dst_unused:UNUSED_PAD src0_sel:WORD_0 src1_sel:DWORD
	v_lshlrev_b16_e32 v16, 8, v26
	v_or_b32_sdwa v16, v25, v16 dst_sel:DWORD dst_unused:UNUSED_PAD src0_sel:BYTE_0 src1_sel:DWORD
	v_lshlrev_b32_e32 v22, 16, v16
	v_lshlrev_b16_e32 v26, 8, v31
	s_add_i32 s0, s4, s2
	v_lshrrev_b32_e32 v19, 24, v22
	v_or_b32_e32 v22, v26, v22
	s_and_b32 s2, s0, 0x7ff
	v_lshrrev_b32_e32 v25, 8, v22
	v_or_b32_sdwa v22, v30, v26 dst_sel:DWORD dst_unused:UNUSED_PAD src0_sel:BYTE_0 src1_sel:DWORD
	v_lshlrev_b16_e32 v26, 8, v14
	v_lshlrev_b16_e32 v27, 8, v13
	s_add_i32 s3, s3, -1
	v_or_b32_sdwa v26, v28, v26 dst_sel:DWORD dst_unused:UNUSED_PAD src0_sel:BYTE_0 src1_sel:DWORD
	s_cmp_lg_u32 s3, 0
	v_or_b32_sdwa v27, v29, v27 dst_sel:DWORD dst_unused:UNUSED_PAD src0_sel:BYTE_0 src1_sel:DWORD
	s_barrier
	s_cbranch_scc0 .LBB165_4
.LBB165_2:                              ; =>This Inner Loop Header: Depth=1
	v_lshrrev_b32_e32 v12, 24, v3
	v_mov_b32_e32 v15, 0x7b
	ds_write_b8 v0, v12
	s_waitcnt lgkmcnt(0)
	s_barrier
	s_and_saveexec_b64 s[0:1], vcc
	s_cbranch_execz .LBB165_1
; %bb.3:                                ;   in Loop: Header=BB165_2 Depth=1
	ds_read_u8 v15, v4
	s_branch .LBB165_1
.LBB165_4:
	s_add_u32 s0, s8, s10
	s_addc_u32 s1, s9, 0
	v_mov_b32_e32 v1, s1
	v_add_co_u32_e32 v0, vcc, s0, v0
	v_addc_co_u32_e32 v1, vcc, 0, v1, vcc
	global_store_byte v[0:1], v15, off
	global_store_byte v[0:1], v17, off offset:256
	global_store_byte v[0:1], v18, off offset:512
	;; [unrolled: 1-line block ×7, first 2 shown]
	s_endpgm
	.section	.rodata,"a",@progbits
	.p2align	6, 0x0
	.amdhsa_kernel _Z6kernelI26subtract_left_partial_tileLj256ELj8ELb1EJPaPiS1_jEEvDpT3_
		.amdhsa_group_segment_fixed_size 512
		.amdhsa_private_segment_fixed_size 0
		.amdhsa_kernarg_size 28
		.amdhsa_user_sgpr_count 6
		.amdhsa_user_sgpr_private_segment_buffer 1
		.amdhsa_user_sgpr_dispatch_ptr 0
		.amdhsa_user_sgpr_queue_ptr 0
		.amdhsa_user_sgpr_kernarg_segment_ptr 1
		.amdhsa_user_sgpr_dispatch_id 0
		.amdhsa_user_sgpr_flat_scratch_init 0
		.amdhsa_user_sgpr_kernarg_preload_length 0
		.amdhsa_user_sgpr_kernarg_preload_offset 0
		.amdhsa_user_sgpr_private_segment_size 0
		.amdhsa_uses_dynamic_stack 0
		.amdhsa_system_sgpr_private_segment_wavefront_offset 0
		.amdhsa_system_sgpr_workgroup_id_x 1
		.amdhsa_system_sgpr_workgroup_id_y 0
		.amdhsa_system_sgpr_workgroup_id_z 0
		.amdhsa_system_sgpr_workgroup_info 0
		.amdhsa_system_vgpr_workitem_id 0
		.amdhsa_next_free_vgpr 32
		.amdhsa_next_free_sgpr 14
		.amdhsa_accum_offset 32
		.amdhsa_reserve_vcc 1
		.amdhsa_reserve_flat_scratch 0
		.amdhsa_float_round_mode_32 0
		.amdhsa_float_round_mode_16_64 0
		.amdhsa_float_denorm_mode_32 3
		.amdhsa_float_denorm_mode_16_64 3
		.amdhsa_dx10_clamp 1
		.amdhsa_ieee_mode 1
		.amdhsa_fp16_overflow 0
		.amdhsa_tg_split 0
		.amdhsa_exception_fp_ieee_invalid_op 0
		.amdhsa_exception_fp_denorm_src 0
		.amdhsa_exception_fp_ieee_div_zero 0
		.amdhsa_exception_fp_ieee_overflow 0
		.amdhsa_exception_fp_ieee_underflow 0
		.amdhsa_exception_fp_ieee_inexact 0
		.amdhsa_exception_int_div_zero 0
	.end_amdhsa_kernel
	.section	.text._Z6kernelI26subtract_left_partial_tileLj256ELj8ELb1EJPaPiS1_jEEvDpT3_,"axG",@progbits,_Z6kernelI26subtract_left_partial_tileLj256ELj8ELb1EJPaPiS1_jEEvDpT3_,comdat
.Lfunc_end165:
	.size	_Z6kernelI26subtract_left_partial_tileLj256ELj8ELb1EJPaPiS1_jEEvDpT3_, .Lfunc_end165-_Z6kernelI26subtract_left_partial_tileLj256ELj8ELb1EJPaPiS1_jEEvDpT3_
                                        ; -- End function
	.section	.AMDGPU.csdata,"",@progbits
; Kernel info:
; codeLenInByte = 1228
; NumSgprs: 18
; NumVgprs: 32
; NumAgprs: 0
; TotalNumVgprs: 32
; ScratchSize: 0
; MemoryBound: 0
; FloatMode: 240
; IeeeMode: 1
; LDSByteSize: 512 bytes/workgroup (compile time only)
; SGPRBlocks: 2
; VGPRBlocks: 3
; NumSGPRsForWavesPerEU: 18
; NumVGPRsForWavesPerEU: 32
; AccumOffset: 32
; Occupancy: 8
; WaveLimiterHint : 1
; COMPUTE_PGM_RSRC2:SCRATCH_EN: 0
; COMPUTE_PGM_RSRC2:USER_SGPR: 6
; COMPUTE_PGM_RSRC2:TRAP_HANDLER: 0
; COMPUTE_PGM_RSRC2:TGID_X_EN: 1
; COMPUTE_PGM_RSRC2:TGID_Y_EN: 0
; COMPUTE_PGM_RSRC2:TGID_Z_EN: 0
; COMPUTE_PGM_RSRC2:TIDIG_COMP_CNT: 0
; COMPUTE_PGM_RSRC3_GFX90A:ACCUM_OFFSET: 7
; COMPUTE_PGM_RSRC3_GFX90A:TG_SPLIT: 0
	.section	.text._Z6kernelI26subtract_left_partial_tileLj256ELj16ELb1EJPaPiS1_jEEvDpT3_,"axG",@progbits,_Z6kernelI26subtract_left_partial_tileLj256ELj16ELb1EJPaPiS1_jEEvDpT3_,comdat
	.protected	_Z6kernelI26subtract_left_partial_tileLj256ELj16ELb1EJPaPiS1_jEEvDpT3_ ; -- Begin function _Z6kernelI26subtract_left_partial_tileLj256ELj16ELb1EJPaPiS1_jEEvDpT3_
	.globl	_Z6kernelI26subtract_left_partial_tileLj256ELj16ELb1EJPaPiS1_jEEvDpT3_
	.p2align	8
	.type	_Z6kernelI26subtract_left_partial_tileLj256ELj16ELb1EJPaPiS1_jEEvDpT3_,@function
_Z6kernelI26subtract_left_partial_tileLj256ELj16ELb1EJPaPiS1_jEEvDpT3_: ; @_Z6kernelI26subtract_left_partial_tileLj256ELj16ELb1EJPaPiS1_jEEvDpT3_
; %bb.0:
	s_load_dwordx4 s[0:3], s[4:5], 0x0
	s_load_dwordx2 s[8:9], s[4:5], 0x10
	s_lshl_b32 s10, s6, 12
	s_load_dword s4, s[4:5], 0x18
	s_mov_b32 s7, 0
	s_waitcnt lgkmcnt(0)
	s_add_u32 s0, s0, s10
	s_addc_u32 s1, s1, 0
	global_load_ubyte v2, v0, s[0:1] offset:256
	global_load_ubyte v3, v0, s[0:1] offset:768
	;; [unrolled: 1-line block ×8, first 2 shown]
	global_load_ubyte v26, v0, s[0:1]
	global_load_ubyte v27, v0, s[0:1] offset:512
	global_load_ubyte v28, v0, s[0:1] offset:1024
	;; [unrolled: 1-line block ×7, first 2 shown]
	v_cvt_f32_u32_e32 v21, s4
	s_lshl_b64 s[0:1], s[6:7], 2
	s_add_u32 s0, s2, s0
	s_addc_u32 s1, s3, s1
	v_rcp_iflag_f32_e32 v34, v21
	s_sub_i32 s3, 0, s4
	s_load_dword s2, s[0:1], 0x0
	v_lshlrev_b32_e32 v1, 4, v0
	v_mul_f32_e32 v34, 0x4f7ffffe, v34
	v_cvt_u32_f32_e32 v34, v34
	s_mov_b32 s11, 0xffff
	v_cmp_ne_u32_e32 vcc, 0, v0
	v_add_u32_e32 v6, -1, v0
	v_readfirstlane_b32 s0, v34
	s_mul_i32 s3, s3, s0
	s_mul_hi_u32 s1, s0, s3
	s_add_i32 s0, s0, s1
	s_lshr_b32 s0, s0, 20
	s_mul_i32 s1, s0, s4
	s_sub_i32 s1, 0x1000, s1
	s_add_i32 s3, s0, 1
	s_sub_i32 s5, s1, s4
	s_cmp_ge_u32 s1, s4
	s_cselect_b32 s0, s3, s0
	s_cselect_b32 s1, s5, s1
	s_add_i32 s3, s0, 1
	s_cmp_ge_u32 s1, s4
	s_cselect_b32 s0, s3, s0
	v_or_b32_e32 v7, 15, v1
	v_or_b32_e32 v8, 14, v1
	;; [unrolled: 1-line block ×15, first 2 shown]
	s_max_u32 s3, s4, 1
	s_add_i32 s4, s0, 1
	s_movk_i32 s5, 0xff
	s_movk_i32 s6, 0xff00
	s_mov_b32 s7, 0xffff0000
                                        ; implicit-def: $vgpr44
                                        ; implicit-def: $vgpr45
                                        ; implicit-def: $vgpr42
                                        ; implicit-def: $vgpr43
                                        ; implicit-def: $vgpr47
                                        ; implicit-def: $vgpr46
                                        ; implicit-def: $vgpr49
                                        ; implicit-def: $vgpr48
	s_waitcnt vmcnt(15)
	v_lshlrev_b16_e32 v2, 8, v2
	s_waitcnt vmcnt(14)
	v_lshlrev_b16_e32 v3, 8, v3
	;; [unrolled: 2-line block ×8, first 2 shown]
	s_waitcnt vmcnt(7)
	v_or_b32_e32 v2, v26, v2
	s_waitcnt vmcnt(6)
	v_or_b32_sdwa v3, v27, v3 dst_sel:WORD_1 dst_unused:UNUSED_PAD src0_sel:DWORD src1_sel:DWORD
	s_waitcnt vmcnt(5)
	v_or_b32_e32 v4, v28, v4
	s_waitcnt vmcnt(4)
	v_or_b32_sdwa v5, v29, v5 dst_sel:WORD_1 dst_unused:UNUSED_PAD src0_sel:DWORD src1_sel:DWORD
	;; [unrolled: 4-line block ×4, first 2 shown]
	v_or_b32_sdwa v2, v2, v3 dst_sel:DWORD dst_unused:UNUSED_PAD src0_sel:WORD_0 src1_sel:DWORD
	v_or_b32_sdwa v3, v4, v5 dst_sel:DWORD dst_unused:UNUSED_PAD src0_sel:WORD_0 src1_sel:DWORD
	;; [unrolled: 1-line block ×4, first 2 shown]
                                        ; implicit-def: $vgpr24
                                        ; implicit-def: $vgpr25
                                        ; implicit-def: $vgpr26
                                        ; implicit-def: $vgpr27
	s_branch .LBB166_2
.LBB166_1:                              ;   in Loop: Header=BB166_2 Depth=1
	s_or_b64 exec, exec, s[0:1]
	v_lshlrev_b16_e32 v24, 8, v24
	v_lshlrev_b16_e32 v25, 8, v25
	v_or_b32_sdwa v24, v47, v24 dst_sel:DWORD dst_unused:UNUSED_PAD src0_sel:BYTE_0 src1_sel:DWORD
	v_or_b32_sdwa v25, v46, v25 dst_sel:WORD_1 dst_unused:UNUSED_PAD src0_sel:BYTE_0 src1_sel:DWORD
	v_lshlrev_b16_e32 v28, 8, v45
	v_lshlrev_b16_e32 v29, 8, v43
	v_or_b32_sdwa v24, v24, v25 dst_sel:DWORD dst_unused:UNUSED_PAD src0_sel:WORD_0 src1_sel:DWORD
	v_lshlrev_b16_e32 v25, 8, v26
	v_lshlrev_b16_e32 v26, 8, v27
	v_or_b32_sdwa v28, v44, v28 dst_sel:DWORD dst_unused:UNUSED_PAD src0_sel:BYTE_0 src1_sel:DWORD
	v_or_b32_sdwa v29, v42, v29 dst_sel:WORD_1 dst_unused:UNUSED_PAD src0_sel:BYTE_0 src1_sel:DWORD
	v_or_b32_sdwa v25, v49, v25 dst_sel:DWORD dst_unused:UNUSED_PAD src0_sel:BYTE_0 src1_sel:DWORD
	v_or_b32_sdwa v26, v48, v26 dst_sel:WORD_1 dst_unused:UNUSED_PAD src0_sel:BYTE_0 src1_sel:DWORD
	v_or_b32_sdwa v28, v28, v29 dst_sel:DWORD dst_unused:UNUSED_PAD src0_sel:WORD_0 src1_sel:DWORD
	v_or_b32_sdwa v25, v25, v26 dst_sel:DWORD dst_unused:UNUSED_PAD src0_sel:WORD_0 src1_sel:DWORD
	v_and_b32_sdwa v29, v24, s5 dst_sel:DWORD dst_unused:UNUSED_PAD src0_sel:WORD_1 src1_sel:DWORD
	v_and_b32_sdwa v27, v3, s6 dst_sel:DWORD dst_unused:UNUSED_PAD src0_sel:WORD_1 src1_sel:DWORD
	;; [unrolled: 1-line block ×3, first 2 shown]
	v_or_b32_e32 v30, v29, v27
	v_and_b32_sdwa v27, v5, s6 dst_sel:DWORD dst_unused:UNUSED_PAD src0_sel:WORD_1 src1_sel:DWORD
	v_sub_u16_sdwa v34, v22, v5 dst_sel:BYTE_1 dst_unused:UNUSED_PAD src0_sel:DWORD src1_sel:WORD_1
	v_or_b32_e32 v27, v26, v27
	v_or_b32_e32 v26, v26, v34
	v_cmp_gt_u32_e64 s[0:1], s2, v7
	v_cndmask_b32_e64 v26, v27, v26, s[0:1]
	v_lshrrev_b32_e32 v44, 8, v5
	v_and_b32_sdwa v33, v5, s5 dst_sel:DWORD dst_unused:UNUSED_PAD src0_sel:WORD_1 src1_sel:DWORD
	v_and_b32_e32 v26, 0xffffff00, v26
	v_sub_u16_sdwa v27, v5, v44 dst_sel:DWORD dst_unused:UNUSED_PAD src0_sel:WORD_1 src1_sel:DWORD
	v_or_b32_sdwa v27, v27, v26 dst_sel:DWORD dst_unused:UNUSED_PAD src0_sel:BYTE_0 src1_sel:DWORD
	v_or_b32_e32 v26, v33, v26
	v_cmp_gt_u32_e64 s[0:1], s2, v8
	v_cndmask_b32_e64 v48, v26, v27, s[0:1]
	v_lshlrev_b32_e32 v26, 16, v48
	v_and_or_b32 v33, v25, s11, v26
	v_and_b32_e32 v26, 0xffffff00, v5
	v_sub_u16_sdwa v27, v44, v5 dst_sel:BYTE_1 dst_unused:UNUSED_PAD src0_sel:DWORD src1_sel:DWORD
	v_or_b32_sdwa v26, v25, v26 dst_sel:DWORD dst_unused:UNUSED_PAD src0_sel:BYTE_0 src1_sel:DWORD
	v_or_b32_sdwa v25, v25, v27 dst_sel:DWORD dst_unused:UNUSED_PAD src0_sel:BYTE_0 src1_sel:DWORD
	v_and_b32_e32 v26, 0xffff, v26
	v_and_b32_e32 v25, 0xffff, v25
	v_cmp_gt_u32_e64 s[0:1], s2, v9
	v_cndmask_b32_e64 v25, v26, v25, s[0:1]
	v_lshrrev_b64 v[26:27], 24, v[4:5]
	v_and_b32_e32 v25, 0xffffff00, v25
	v_sub_u16_e32 v27, v5, v26
	v_or_b32_sdwa v27, v27, v25 dst_sel:DWORD dst_unused:UNUSED_PAD src0_sel:BYTE_0 src1_sel:DWORD
	v_or_b32_sdwa v25, v5, v25 dst_sel:DWORD dst_unused:UNUSED_PAD src0_sel:BYTE_0 src1_sel:DWORD
	v_lshrrev_b32_e32 v37, 16, v4
	v_and_b32_e32 v25, 0xffff, v25
	v_and_b32_e32 v27, 0xffff, v27
	v_cmp_gt_u32_e64 s[0:1], s2, v10
	v_cndmask_b32_e64 v49, v25, v27, s[0:1]
	v_sub_u16_sdwa v25, v26, v37 dst_sel:BYTE_1 dst_unused:UNUSED_PAD src0_sel:DWORD src1_sel:DWORD
	v_cmp_gt_u32_e64 s[0:1], s2, v11
	v_cndmask_b32_e64 v25, v37, v25, s[0:1]
	v_lshrrev_b32_e32 v27, 8, v4
	v_and_or_b32 v41, v33, s7, v49
	v_and_b32_e32 v25, 0xffffff00, v25
	v_sub_u16_e32 v33, v37, v27
	v_or_b32_sdwa v33, v33, v25 dst_sel:DWORD dst_unused:UNUSED_PAD src0_sel:BYTE_0 src1_sel:DWORD
	v_or_b32_sdwa v25, v37, v25 dst_sel:DWORD dst_unused:UNUSED_PAD src0_sel:BYTE_0 src1_sel:DWORD
	v_cmp_gt_u32_e64 s[0:1], s2, v12
	v_cndmask_b32_e64 v38, v25, v33, s[0:1]
	v_sub_u16_sdwa v25, v27, v4 dst_sel:BYTE_1 dst_unused:UNUSED_PAD src0_sel:DWORD src1_sel:DWORD
	v_cmp_gt_u32_e64 s[0:1], s2, v13
	v_cndmask_b32_e64 v25, v4, v25, s[0:1]
	v_and_b32_e32 v25, 0xffffff00, v25
	v_sub_u16_sdwa v33, v4, v3 dst_sel:DWORD dst_unused:UNUSED_PAD src0_sel:DWORD src1_sel:BYTE_3
	v_or_b32_sdwa v33, v33, v25 dst_sel:DWORD dst_unused:UNUSED_PAD src0_sel:BYTE_0 src1_sel:DWORD
	v_or_b32_sdwa v25, v4, v25 dst_sel:DWORD dst_unused:UNUSED_PAD src0_sel:BYTE_0 src1_sel:DWORD
	v_and_b32_e32 v25, 0xffff, v25
	v_and_b32_e32 v33, 0xffff, v33
	v_cmp_gt_u32_e64 s[0:1], s2, v14
	v_cndmask_b32_e64 v35, v25, v33, s[0:1]
	v_sub_u16_sdwa v25, v3, v3 dst_sel:BYTE_1 dst_unused:UNUSED_PAD src0_sel:BYTE_3 src1_sel:WORD_1
	v_or_b32_e32 v25, v29, v25
	v_cmp_gt_u32_e64 s[0:1], s2, v15
	v_cndmask_b32_e64 v25, v30, v25, s[0:1]
	v_lshrrev_b32_e32 v34, 8, v3
	v_and_b32_sdwa v32, v3, s5 dst_sel:DWORD dst_unused:UNUSED_PAD src0_sel:WORD_1 src1_sel:DWORD
	v_and_b32_e32 v25, 0xffffff00, v25
	v_sub_u16_sdwa v29, v3, v34 dst_sel:DWORD dst_unused:UNUSED_PAD src0_sel:WORD_1 src1_sel:DWORD
	v_or_b32_sdwa v29, v29, v25 dst_sel:DWORD dst_unused:UNUSED_PAD src0_sel:BYTE_0 src1_sel:DWORD
	v_or_b32_e32 v25, v32, v25
	v_cmp_gt_u32_e64 s[0:1], s2, v16
	v_cndmask_b32_e64 v46, v25, v29, s[0:1]
	v_lshlrev_b32_e32 v25, 16, v46
	v_and_or_b32 v29, v24, s11, v25
	v_and_b32_e32 v25, 0xffffff00, v3
	v_sub_u16_sdwa v30, v34, v3 dst_sel:BYTE_1 dst_unused:UNUSED_PAD src0_sel:DWORD src1_sel:DWORD
	v_or_b32_sdwa v25, v24, v25 dst_sel:DWORD dst_unused:UNUSED_PAD src0_sel:BYTE_0 src1_sel:DWORD
	v_or_b32_sdwa v24, v24, v30 dst_sel:DWORD dst_unused:UNUSED_PAD src0_sel:BYTE_0 src1_sel:DWORD
	v_and_b32_e32 v25, 0xffff, v25
	v_and_b32_e32 v24, 0xffff, v24
	v_cmp_gt_u32_e64 s[0:1], s2, v17
	v_cndmask_b32_e64 v24, v25, v24, s[0:1]
	v_and_b32_e32 v30, 0xffffff00, v24
	v_lshrrev_b64 v[24:25], 24, v[2:3]
	v_sub_u16_e32 v25, v3, v24
	v_or_b32_sdwa v25, v25, v30 dst_sel:DWORD dst_unused:UNUSED_PAD src0_sel:BYTE_0 src1_sel:DWORD
	v_or_b32_sdwa v30, v3, v30 dst_sel:DWORD dst_unused:UNUSED_PAD src0_sel:BYTE_0 src1_sel:DWORD
	v_lshrrev_b32_e32 v31, 16, v2
	v_and_b32_e32 v30, 0xffff, v30
	v_and_b32_e32 v25, 0xffff, v25
	v_cmp_gt_u32_e64 s[0:1], s2, v18
	v_cndmask_b32_e64 v47, v30, v25, s[0:1]
	v_sub_u16_sdwa v25, v24, v31 dst_sel:BYTE_1 dst_unused:UNUSED_PAD src0_sel:DWORD src1_sel:DWORD
	v_cmp_gt_u32_e64 s[0:1], s2, v19
	v_and_or_b32 v33, v29, s7, v47
	v_cndmask_b32_e64 v25, v31, v25, s[0:1]
	v_lshrrev_b32_e32 v29, 8, v2
	v_and_b32_e32 v25, 0xffffff00, v25
	v_sub_u16_e32 v30, v31, v29
	v_or_b32_sdwa v30, v30, v25 dst_sel:DWORD dst_unused:UNUSED_PAD src0_sel:BYTE_0 src1_sel:DWORD
	v_or_b32_sdwa v25, v31, v25 dst_sel:DWORD dst_unused:UNUSED_PAD src0_sel:BYTE_0 src1_sel:DWORD
	v_cmp_gt_u32_e64 s[0:1], s2, v20
	v_cndmask_b32_e64 v45, v25, v30, s[0:1]
	v_and_b32_e32 v25, 0xffffff00, v2
	v_sub_u16_sdwa v30, v29, v2 dst_sel:BYTE_1 dst_unused:UNUSED_PAD src0_sel:DWORD src1_sel:DWORD
	v_or_b32_sdwa v25, v28, v25 dst_sel:DWORD dst_unused:UNUSED_PAD src0_sel:BYTE_0 src1_sel:DWORD
	v_or_b32_sdwa v28, v28, v30 dst_sel:DWORD dst_unused:UNUSED_PAD src0_sel:BYTE_0 src1_sel:DWORD
	v_and_b32_e32 v25, 0xffff, v25
	v_and_b32_e32 v28, 0xffff, v28
	v_cmp_gt_u32_e64 s[0:1], s2, v21
	v_cndmask_b32_e64 v25, v25, v28, s[0:1]
	v_cmp_gt_u32_e64 s[0:1], s2, v1
	v_lshl_or_b32 v32, v45, 16, v25
	s_waitcnt lgkmcnt(0)
	v_cndmask_b32_e64 v23, 0, v23, s[0:1]
	v_lshl_or_b32 v40, v38, 16, v35
	v_sub_u16_e32 v50, v2, v23
	v_lshrrev_b64 v[42:43], 24, v[32:33]
	v_add_u16_e32 v23, v50, v2
	v_lshrrev_b32_e32 v51, 8, v32
	v_add_u16_e32 v30, v42, v24
	v_lshrrev_b32_e32 v24, 8, v33
	v_bfe_u32 v25, v46, 8, 8
	v_lshrrev_b32_e32 v2, 8, v40
	v_add_u16_e32 v28, v51, v29
	v_add_u16_e32 v29, v45, v31
	v_add_u16_e32 v31, v47, v3
	v_add_u16_e32 v32, v24, v34
	v_add_u16_sdwa v33, v46, v3 dst_sel:DWORD dst_unused:UNUSED_PAD src0_sel:DWORD src1_sel:WORD_1
	v_add_u16_sdwa v34, v25, v3 dst_sel:DWORD dst_unused:UNUSED_PAD src0_sel:DWORD src1_sel:BYTE_3
	v_add_u16_e32 v36, v2, v27
	v_lshrrev_b64 v[2:3], 24, v[40:41]
	v_add_u16_e32 v37, v38, v37
	v_add_u16_e32 v38, v2, v26
	v_lshlrev_b16_e32 v2, 8, v30
	v_lshlrev_b16_e32 v3, 8, v28
	v_or_b32_sdwa v2, v29, v2 dst_sel:WORD_1 dst_unused:UNUSED_PAD src0_sel:BYTE_0 src1_sel:DWORD
	v_or_b32_sdwa v3, v23, v3 dst_sel:DWORD dst_unused:UNUSED_PAD src0_sel:BYTE_0 src1_sel:DWORD
	v_add_u16_e32 v35, v35, v4
	v_or_b32_sdwa v2, v3, v2 dst_sel:DWORD dst_unused:UNUSED_PAD src0_sel:WORD_0 src1_sel:DWORD
	v_lshlrev_b16_e32 v3, 8, v32
	v_lshlrev_b16_e32 v4, 8, v34
	v_or_b32_sdwa v3, v31, v3 dst_sel:DWORD dst_unused:UNUSED_PAD src0_sel:BYTE_0 src1_sel:DWORD
	v_or_b32_sdwa v4, v33, v4 dst_sel:WORD_1 dst_unused:UNUSED_PAD src0_sel:BYTE_0 src1_sel:DWORD
	v_add_u16_e32 v39, v49, v5
	v_lshrrev_b32_e32 v26, 8, v41
	v_add_u16_sdwa v41, v48, v5 dst_sel:DWORD dst_unused:UNUSED_PAD src0_sel:DWORD src1_sel:WORD_1
	v_bfe_u32 v27, v48, 8, 8
	v_or_b32_sdwa v3, v3, v4 dst_sel:DWORD dst_unused:UNUSED_PAD src0_sel:WORD_0 src1_sel:DWORD
	v_lshlrev_b16_e32 v4, 8, v38
	v_lshlrev_b16_e32 v5, 8, v36
	v_add_u16_e32 v40, v26, v44
	v_add_u16_e32 v22, v27, v22
	v_or_b32_sdwa v4, v37, v4 dst_sel:WORD_1 dst_unused:UNUSED_PAD src0_sel:BYTE_0 src1_sel:DWORD
	v_or_b32_sdwa v5, v35, v5 dst_sel:DWORD dst_unused:UNUSED_PAD src0_sel:BYTE_0 src1_sel:DWORD
	v_lshlrev_b16_e32 v42, 8, v42
	v_or_b32_sdwa v4, v5, v4 dst_sel:DWORD dst_unused:UNUSED_PAD src0_sel:WORD_0 src1_sel:DWORD
	v_lshlrev_b16_e32 v5, 8, v40
	v_lshlrev_b16_e32 v43, 8, v22
	v_or_b32_sdwa v42, v45, v42 dst_sel:DWORD dst_unused:UNUSED_PAD src0_sel:BYTE_0 src1_sel:DWORD
	v_or_b32_sdwa v5, v39, v5 dst_sel:DWORD dst_unused:UNUSED_PAD src0_sel:BYTE_0 src1_sel:DWORD
	v_or_b32_sdwa v43, v41, v43 dst_sel:WORD_1 dst_unused:UNUSED_PAD src0_sel:BYTE_0 src1_sel:DWORD
	v_lshlrev_b32_e32 v44, 16, v42
	v_lshlrev_b16_e32 v51, 8, v51
	v_or_b32_sdwa v5, v5, v43 dst_sel:DWORD dst_unused:UNUSED_PAD src0_sel:WORD_0 src1_sel:DWORD
	v_lshrrev_b32_e32 v43, 24, v44
	v_or_b32_e32 v44, v51, v44
	v_lshrrev_b32_e32 v45, 8, v44
	v_or_b32_sdwa v44, v50, v51 dst_sel:DWORD dst_unused:UNUSED_PAD src0_sel:BYTE_0 src1_sel:DWORD
	v_lshlrev_b16_e32 v50, 8, v25
	v_or_b32_sdwa v46, v46, v50 dst_sel:DWORD dst_unused:UNUSED_PAD src0_sel:BYTE_0 src1_sel:DWORD
	v_lshlrev_b16_e32 v50, 8, v24
	s_add_i32 s0, s4, s2
	v_or_b32_sdwa v47, v47, v50 dst_sel:DWORD dst_unused:UNUSED_PAD src0_sel:BYTE_0 src1_sel:DWORD
	v_lshlrev_b16_e32 v50, 8, v27
	s_and_b32 s2, s0, 0xfff
	v_or_b32_sdwa v48, v48, v50 dst_sel:DWORD dst_unused:UNUSED_PAD src0_sel:BYTE_0 src1_sel:DWORD
	v_lshlrev_b16_e32 v50, 8, v26
	s_add_i32 s3, s3, -1
	s_cmp_lg_u32 s3, 0
	v_or_b32_sdwa v49, v49, v50 dst_sel:DWORD dst_unused:UNUSED_PAD src0_sel:BYTE_0 src1_sel:DWORD
	s_barrier
	s_cbranch_scc0 .LBB166_4
.LBB166_2:                              ; =>This Inner Loop Header: Depth=1
	v_lshrrev_b32_e32 v22, 24, v5
	v_mov_b32_e32 v23, 0x7b
	ds_write_b8 v0, v22
	s_waitcnt lgkmcnt(0)
	s_barrier
	s_and_saveexec_b64 s[0:1], vcc
	s_cbranch_execz .LBB166_1
; %bb.3:                                ;   in Loop: Header=BB166_2 Depth=1
	ds_read_u8 v23, v6
	s_branch .LBB166_1
.LBB166_4:
	s_add_u32 s0, s8, s10
	s_addc_u32 s1, s9, 0
	v_mov_b32_e32 v1, s1
	v_add_co_u32_e32 v0, vcc, s0, v0
	v_addc_co_u32_e32 v1, vcc, 0, v1, vcc
	global_store_byte v[0:1], v23, off
	global_store_byte v[0:1], v28, off offset:256
	global_store_byte v[0:1], v29, off offset:512
	;; [unrolled: 1-line block ×15, first 2 shown]
	s_endpgm
	.section	.rodata,"a",@progbits
	.p2align	6, 0x0
	.amdhsa_kernel _Z6kernelI26subtract_left_partial_tileLj256ELj16ELb1EJPaPiS1_jEEvDpT3_
		.amdhsa_group_segment_fixed_size 512
		.amdhsa_private_segment_fixed_size 0
		.amdhsa_kernarg_size 28
		.amdhsa_user_sgpr_count 6
		.amdhsa_user_sgpr_private_segment_buffer 1
		.amdhsa_user_sgpr_dispatch_ptr 0
		.amdhsa_user_sgpr_queue_ptr 0
		.amdhsa_user_sgpr_kernarg_segment_ptr 1
		.amdhsa_user_sgpr_dispatch_id 0
		.amdhsa_user_sgpr_flat_scratch_init 0
		.amdhsa_user_sgpr_kernarg_preload_length 0
		.amdhsa_user_sgpr_kernarg_preload_offset 0
		.amdhsa_user_sgpr_private_segment_size 0
		.amdhsa_uses_dynamic_stack 0
		.amdhsa_system_sgpr_private_segment_wavefront_offset 0
		.amdhsa_system_sgpr_workgroup_id_x 1
		.amdhsa_system_sgpr_workgroup_id_y 0
		.amdhsa_system_sgpr_workgroup_id_z 0
		.amdhsa_system_sgpr_workgroup_info 0
		.amdhsa_system_vgpr_workitem_id 0
		.amdhsa_next_free_vgpr 52
		.amdhsa_next_free_sgpr 12
		.amdhsa_accum_offset 52
		.amdhsa_reserve_vcc 1
		.amdhsa_reserve_flat_scratch 0
		.amdhsa_float_round_mode_32 0
		.amdhsa_float_round_mode_16_64 0
		.amdhsa_float_denorm_mode_32 3
		.amdhsa_float_denorm_mode_16_64 3
		.amdhsa_dx10_clamp 1
		.amdhsa_ieee_mode 1
		.amdhsa_fp16_overflow 0
		.amdhsa_tg_split 0
		.amdhsa_exception_fp_ieee_invalid_op 0
		.amdhsa_exception_fp_denorm_src 0
		.amdhsa_exception_fp_ieee_div_zero 0
		.amdhsa_exception_fp_ieee_overflow 0
		.amdhsa_exception_fp_ieee_underflow 0
		.amdhsa_exception_fp_ieee_inexact 0
		.amdhsa_exception_int_div_zero 0
	.end_amdhsa_kernel
	.section	.text._Z6kernelI26subtract_left_partial_tileLj256ELj16ELb1EJPaPiS1_jEEvDpT3_,"axG",@progbits,_Z6kernelI26subtract_left_partial_tileLj256ELj16ELb1EJPaPiS1_jEEvDpT3_,comdat
.Lfunc_end166:
	.size	_Z6kernelI26subtract_left_partial_tileLj256ELj16ELb1EJPaPiS1_jEEvDpT3_, .Lfunc_end166-_Z6kernelI26subtract_left_partial_tileLj256ELj16ELb1EJPaPiS1_jEEvDpT3_
                                        ; -- End function
	.section	.AMDGPU.csdata,"",@progbits
; Kernel info:
; codeLenInByte = 2088
; NumSgprs: 16
; NumVgprs: 52
; NumAgprs: 0
; TotalNumVgprs: 52
; ScratchSize: 0
; MemoryBound: 0
; FloatMode: 240
; IeeeMode: 1
; LDSByteSize: 512 bytes/workgroup (compile time only)
; SGPRBlocks: 1
; VGPRBlocks: 6
; NumSGPRsForWavesPerEU: 16
; NumVGPRsForWavesPerEU: 52
; AccumOffset: 52
; Occupancy: 8
; WaveLimiterHint : 1
; COMPUTE_PGM_RSRC2:SCRATCH_EN: 0
; COMPUTE_PGM_RSRC2:USER_SGPR: 6
; COMPUTE_PGM_RSRC2:TRAP_HANDLER: 0
; COMPUTE_PGM_RSRC2:TGID_X_EN: 1
; COMPUTE_PGM_RSRC2:TGID_Y_EN: 0
; COMPUTE_PGM_RSRC2:TGID_Z_EN: 0
; COMPUTE_PGM_RSRC2:TIDIG_COMP_CNT: 0
; COMPUTE_PGM_RSRC3_GFX90A:ACCUM_OFFSET: 12
; COMPUTE_PGM_RSRC3_GFX90A:TG_SPLIT: 0
	.section	.text._Z6kernelI26subtract_left_partial_tileLj256ELj32ELb1EJPaPiS1_jEEvDpT3_,"axG",@progbits,_Z6kernelI26subtract_left_partial_tileLj256ELj32ELb1EJPaPiS1_jEEvDpT3_,comdat
	.protected	_Z6kernelI26subtract_left_partial_tileLj256ELj32ELb1EJPaPiS1_jEEvDpT3_ ; -- Begin function _Z6kernelI26subtract_left_partial_tileLj256ELj32ELb1EJPaPiS1_jEEvDpT3_
	.globl	_Z6kernelI26subtract_left_partial_tileLj256ELj32ELb1EJPaPiS1_jEEvDpT3_
	.p2align	8
	.type	_Z6kernelI26subtract_left_partial_tileLj256ELj32ELb1EJPaPiS1_jEEvDpT3_,@function
_Z6kernelI26subtract_left_partial_tileLj256ELj32ELb1EJPaPiS1_jEEvDpT3_: ; @_Z6kernelI26subtract_left_partial_tileLj256ELj32ELb1EJPaPiS1_jEEvDpT3_
; %bb.0:
	s_load_dwordx4 s[0:3], s[4:5], 0x0
	s_load_dwordx2 s[8:9], s[4:5], 0x10
	s_lshl_b32 s10, s6, 13
	s_load_dword s4, s[4:5], 0x18
	s_mov_b32 s7, 0
	s_waitcnt lgkmcnt(0)
	s_add_u32 s0, s0, s10
	s_addc_u32 s1, s1, 0
	v_mov_b32_e32 v1, s1
	v_add_co_u32_e32 v2, vcc, s0, v0
	v_addc_co_u32_e32 v1, vcc, 0, v1, vcc
	global_load_ubyte v32, v0, s[0:1]
	global_load_ubyte v31, v0, s[0:1] offset:256
	global_load_ubyte v30, v0, s[0:1] offset:512
	;; [unrolled: 1-line block ×15, first 2 shown]
	s_movk_i32 s0, 0x1000
	v_add_co_u32_e32 v34, vcc, s0, v2
	v_addc_co_u32_e32 v35, vcc, 0, v1, vcc
	global_load_ubyte v15, v[34:35], off
	global_load_ubyte v14, v[34:35], off offset:256
	global_load_ubyte v13, v[34:35], off offset:512
	;; [unrolled: 1-line block ×15, first 2 shown]
	v_cvt_f32_u32_e32 v33, s4
	s_lshl_b64 s[0:1], s[6:7], 2
	s_add_u32 s0, s2, s0
	s_addc_u32 s1, s3, s1
	v_rcp_iflag_f32_e32 v33, v33
	s_load_dword s2, s[0:1], 0x0
	s_sub_i32 s0, 0, s4
	v_cmp_ne_u32_e32 vcc, 0, v0
	v_mul_f32_e32 v33, 0x4f7ffffe, v33
	v_cvt_u32_f32_e32 v33, v33
	v_add_u32_e32 v65, -1, v0
	v_readfirstlane_b32 s1, v33
	s_mul_i32 s0, s0, s1
	s_mul_hi_u32 s0, s1, s0
	s_add_i32 s1, s1, s0
	s_lshr_b32 s0, s1, 19
	s_mul_i32 s1, s0, s4
	s_sub_i32 s1, 0x2000, s1
	s_add_i32 s3, s0, 1
	s_sub_i32 s5, s1, s4
	s_cmp_ge_u32 s1, s4
	s_cselect_b32 s0, s3, s0
	s_cselect_b32 s1, s5, s1
	s_add_i32 s3, s0, 1
	s_cmp_ge_u32 s1, s4
	s_cselect_b32 s3, s3, s0
	v_lshlrev_b32_e32 v33, 5, v0
	s_add_i32 s3, s3, 1
	v_or_b32_e32 v34, 31, v33
	v_or_b32_e32 v35, 30, v33
	;; [unrolled: 1-line block ×18, first 2 shown]
	s_max_u32 s4, s4, 1
	v_or_b32_e32 v52, 13, v33
	v_or_b32_e32 v53, 12, v33
	;; [unrolled: 1-line block ×13, first 2 shown]
	s_branch .LBB167_2
.LBB167_1:                              ;   in Loop: Header=BB167_2 Depth=1
	s_or_b64 exec, exec, s[0:1]
	v_cmp_gt_u32_e64 s[0:1], s2, v34
	v_cndmask_b32_e64 v67, 0, v1, s[0:1]
	v_cmp_gt_u32_e64 s[0:1], s2, v35
	v_cndmask_b32_e64 v68, 0, v2, s[0:1]
	v_cmp_gt_u32_e64 s[0:1], s2, v64
	v_cndmask_b32_e64 v69, 0, v32, s[0:1]
	v_cmp_gt_u32_e64 s[0:1], s2, v33
	s_waitcnt lgkmcnt(0)
	v_cndmask_b32_e64 v66, 0, v66, s[0:1]
	v_sub_u16_e32 v66, v32, v66
	v_cmp_gt_u32_e64 s[0:1], s2, v63
	v_add_u16_e32 v32, v66, v32
	v_cndmask_b32_e64 v66, 0, v31, s[0:1]
	v_sub_u16_e32 v69, v31, v69
	v_cmp_gt_u32_e64 s[0:1], s2, v62
	v_add_u16_e32 v31, v69, v31
	;; [unrolled: 4-line block ×28, first 2 shown]
	v_cndmask_b32_e64 v69, 0, v3, s[0:1]
	s_add_i32 s0, s3, s2
	v_sub_u16_e32 v67, v16, v67
	v_sub_u16_e32 v68, v1, v68
	;; [unrolled: 1-line block ×4, first 2 shown]
	s_and_b32 s2, s0, 0x1fff
	s_add_i32 s4, s4, -1
	v_add_u16_e32 v3, v66, v3
	v_add_u16_e32 v2, v69, v2
	;; [unrolled: 1-line block ×4, first 2 shown]
	s_cmp_lg_u32 s4, 0
	s_barrier
	s_cbranch_scc0 .LBB167_4
.LBB167_2:                              ; =>This Inner Loop Header: Depth=1
	v_mov_b32_e32 v66, 0x7b
	s_waitcnt vmcnt(0)
	ds_write_b8 v0, v16
	s_waitcnt lgkmcnt(0)
	s_barrier
	s_and_saveexec_b64 s[0:1], vcc
	s_cbranch_execz .LBB167_1
; %bb.3:                                ;   in Loop: Header=BB167_2 Depth=1
	ds_read_u8 v66, v65
	s_branch .LBB167_1
.LBB167_4:
	s_add_u32 s0, s8, s10
	s_addc_u32 s1, s9, 0
	v_mov_b32_e32 v33, s1
	v_add_co_u32_e32 v34, vcc, s0, v0
	v_addc_co_u32_e32 v35, vcc, 0, v33, vcc
	s_movk_i32 s0, 0x1000
	global_store_byte v[34:35], v32, off
	global_store_byte v[34:35], v31, off offset:256
	global_store_byte v[34:35], v30, off offset:512
	global_store_byte v[34:35], v29, off offset:768
	global_store_byte v[34:35], v28, off offset:1024
	global_store_byte v[34:35], v27, off offset:1280
	global_store_byte v[34:35], v26, off offset:1536
	global_store_byte v[34:35], v25, off offset:1792
	global_store_byte v[34:35], v24, off offset:2048
	global_store_byte v[34:35], v23, off offset:2304
	global_store_byte v[34:35], v22, off offset:2560
	global_store_byte v[34:35], v21, off offset:2816
	global_store_byte v[34:35], v20, off offset:3072
	global_store_byte v[34:35], v19, off offset:3328
	global_store_byte v[34:35], v18, off offset:3584
	global_store_byte v[34:35], v17, off offset:3840
	v_add_co_u32_e32 v18, vcc, s0, v34
	v_addc_co_u32_e32 v19, vcc, 0, v35, vcc
	global_store_byte v[18:19], v15, off
	global_store_byte v[18:19], v14, off offset:256
	global_store_byte v[18:19], v13, off offset:512
	;; [unrolled: 1-line block ×15, first 2 shown]
	s_endpgm
	.section	.rodata,"a",@progbits
	.p2align	6, 0x0
	.amdhsa_kernel _Z6kernelI26subtract_left_partial_tileLj256ELj32ELb1EJPaPiS1_jEEvDpT3_
		.amdhsa_group_segment_fixed_size 512
		.amdhsa_private_segment_fixed_size 0
		.amdhsa_kernarg_size 28
		.amdhsa_user_sgpr_count 6
		.amdhsa_user_sgpr_private_segment_buffer 1
		.amdhsa_user_sgpr_dispatch_ptr 0
		.amdhsa_user_sgpr_queue_ptr 0
		.amdhsa_user_sgpr_kernarg_segment_ptr 1
		.amdhsa_user_sgpr_dispatch_id 0
		.amdhsa_user_sgpr_flat_scratch_init 0
		.amdhsa_user_sgpr_kernarg_preload_length 0
		.amdhsa_user_sgpr_kernarg_preload_offset 0
		.amdhsa_user_sgpr_private_segment_size 0
		.amdhsa_uses_dynamic_stack 0
		.amdhsa_system_sgpr_private_segment_wavefront_offset 0
		.amdhsa_system_sgpr_workgroup_id_x 1
		.amdhsa_system_sgpr_workgroup_id_y 0
		.amdhsa_system_sgpr_workgroup_id_z 0
		.amdhsa_system_sgpr_workgroup_info 0
		.amdhsa_system_vgpr_workitem_id 0
		.amdhsa_next_free_vgpr 70
		.amdhsa_next_free_sgpr 11
		.amdhsa_accum_offset 72
		.amdhsa_reserve_vcc 1
		.amdhsa_reserve_flat_scratch 0
		.amdhsa_float_round_mode_32 0
		.amdhsa_float_round_mode_16_64 0
		.amdhsa_float_denorm_mode_32 3
		.amdhsa_float_denorm_mode_16_64 3
		.amdhsa_dx10_clamp 1
		.amdhsa_ieee_mode 1
		.amdhsa_fp16_overflow 0
		.amdhsa_tg_split 0
		.amdhsa_exception_fp_ieee_invalid_op 0
		.amdhsa_exception_fp_denorm_src 0
		.amdhsa_exception_fp_ieee_div_zero 0
		.amdhsa_exception_fp_ieee_overflow 0
		.amdhsa_exception_fp_ieee_underflow 0
		.amdhsa_exception_fp_ieee_inexact 0
		.amdhsa_exception_int_div_zero 0
	.end_amdhsa_kernel
	.section	.text._Z6kernelI26subtract_left_partial_tileLj256ELj32ELb1EJPaPiS1_jEEvDpT3_,"axG",@progbits,_Z6kernelI26subtract_left_partial_tileLj256ELj32ELb1EJPaPiS1_jEEvDpT3_,comdat
.Lfunc_end167:
	.size	_Z6kernelI26subtract_left_partial_tileLj256ELj32ELb1EJPaPiS1_jEEvDpT3_, .Lfunc_end167-_Z6kernelI26subtract_left_partial_tileLj256ELj32ELb1EJPaPiS1_jEEvDpT3_
                                        ; -- End function
	.section	.AMDGPU.csdata,"",@progbits
; Kernel info:
; codeLenInByte = 1724
; NumSgprs: 15
; NumVgprs: 70
; NumAgprs: 0
; TotalNumVgprs: 70
; ScratchSize: 0
; MemoryBound: 0
; FloatMode: 240
; IeeeMode: 1
; LDSByteSize: 512 bytes/workgroup (compile time only)
; SGPRBlocks: 1
; VGPRBlocks: 8
; NumSGPRsForWavesPerEU: 15
; NumVGPRsForWavesPerEU: 70
; AccumOffset: 72
; Occupancy: 7
; WaveLimiterHint : 1
; COMPUTE_PGM_RSRC2:SCRATCH_EN: 0
; COMPUTE_PGM_RSRC2:USER_SGPR: 6
; COMPUTE_PGM_RSRC2:TRAP_HANDLER: 0
; COMPUTE_PGM_RSRC2:TGID_X_EN: 1
; COMPUTE_PGM_RSRC2:TGID_Y_EN: 0
; COMPUTE_PGM_RSRC2:TGID_Z_EN: 0
; COMPUTE_PGM_RSRC2:TIDIG_COMP_CNT: 0
; COMPUTE_PGM_RSRC3_GFX90A:ACCUM_OFFSET: 17
; COMPUTE_PGM_RSRC3_GFX90A:TG_SPLIT: 0
	.section	.text._Z6kernelI26subtract_left_partial_tileLj256ELj1ELb1EJPxPiS1_jEEvDpT3_,"axG",@progbits,_Z6kernelI26subtract_left_partial_tileLj256ELj1ELb1EJPxPiS1_jEEvDpT3_,comdat
	.protected	_Z6kernelI26subtract_left_partial_tileLj256ELj1ELb1EJPxPiS1_jEEvDpT3_ ; -- Begin function _Z6kernelI26subtract_left_partial_tileLj256ELj1ELb1EJPxPiS1_jEEvDpT3_
	.globl	_Z6kernelI26subtract_left_partial_tileLj256ELj1ELb1EJPxPiS1_jEEvDpT3_
	.p2align	8
	.type	_Z6kernelI26subtract_left_partial_tileLj256ELj1ELb1EJPxPiS1_jEEvDpT3_,@function
_Z6kernelI26subtract_left_partial_tileLj256ELj1ELb1EJPxPiS1_jEEvDpT3_: ; @_Z6kernelI26subtract_left_partial_tileLj256ELj1ELb1EJPxPiS1_jEEvDpT3_
; %bb.0:
	s_load_dwordx4 s[12:15], s[4:5], 0x0
	s_load_dwordx2 s[2:3], s[4:5], 0x10
	s_lshl_b32 s0, s6, 8
	s_mov_b32 s1, 0
	s_lshl_b64 s[8:9], s[0:1], 3
	s_waitcnt lgkmcnt(0)
	s_add_u32 s10, s12, s8
	s_addc_u32 s11, s13, s9
	v_lshlrev_b32_e32 v1, 3, v0
	global_load_dwordx2 v[2:3], v1, s[10:11]
	s_load_dword s10, s[4:5], 0x18
	s_mov_b32 s7, s1
	s_lshl_b64 s[0:1], s[6:7], 2
	s_add_u32 s0, s14, s0
	s_addc_u32 s1, s15, s1
	s_waitcnt lgkmcnt(0)
	v_cvt_f32_u32_e32 v4, s10
	s_load_dword s4, s[0:1], 0x0
	s_sub_i32 s0, 0, s10
	v_cmp_ne_u32_e32 vcc, 0, v0
	v_rcp_iflag_f32_e32 v4, v4
	v_add_u32_e32 v6, -8, v1
	v_mul_f32_e32 v4, 0x4f7ffffe, v4
	v_cvt_u32_f32_e32 v4, v4
	v_readfirstlane_b32 s1, v4
	s_mul_i32 s0, s0, s1
	s_mul_hi_u32 s0, s1, s0
	s_add_i32 s1, s1, s0
	s_lshr_b32 s0, s1, 24
	s_mul_i32 s1, s0, s10
	s_sub_i32 s1, 0x100, s1
	s_add_i32 s5, s0, 1
	s_sub_i32 s6, s1, s10
	s_cmp_ge_u32 s1, s10
	s_cselect_b32 s0, s5, s0
	s_cselect_b32 s1, s6, s1
	s_add_i32 s5, s0, 1
	s_cmp_ge_u32 s1, s10
	s_cselect_b32 s5, s5, s0
	s_add_i32 s5, s5, 1
	s_max_u32 s6, s10, 1
	s_branch .LBB168_2
.LBB168_1:                              ;   in Loop: Header=BB168_2 Depth=1
	s_or_b64 exec, exec, s[0:1]
	v_cmp_gt_u32_e64 s[0:1], s4, v0
	s_waitcnt lgkmcnt(0)
	v_cndmask_b32_e64 v4, 0, v4, s[0:1]
	v_lshlrev_b64 v[2:3], 1, v[2:3]
	v_cndmask_b32_e64 v5, 0, v5, s[0:1]
	v_sub_co_u32_e64 v2, s[0:1], v2, v4
	v_subb_co_u32_e64 v3, s[0:1], v3, v5, s[0:1]
	s_add_i32 s0, s5, s4
	s_and_b32 s4, s0, 0xff
	s_add_i32 s6, s6, -1
	s_cmp_lg_u32 s6, 0
	s_barrier
	s_cbranch_scc0 .LBB168_4
.LBB168_2:                              ; =>This Inner Loop Header: Depth=1
	v_mov_b32_e32 v4, 0x7b
	v_mov_b32_e32 v5, 0
	s_waitcnt vmcnt(0)
	ds_write_b64 v1, v[2:3]
	s_waitcnt lgkmcnt(0)
	s_barrier
	s_and_saveexec_b64 s[0:1], vcc
	s_cbranch_execz .LBB168_1
; %bb.3:                                ;   in Loop: Header=BB168_2 Depth=1
	ds_read_b64 v[4:5], v6
	s_branch .LBB168_1
.LBB168_4:
	s_add_u32 s0, s2, s8
	s_addc_u32 s1, s3, s9
	v_lshlrev_b32_e32 v0, 3, v0
	global_store_dwordx2 v0, v[2:3], s[0:1]
	s_endpgm
	.section	.rodata,"a",@progbits
	.p2align	6, 0x0
	.amdhsa_kernel _Z6kernelI26subtract_left_partial_tileLj256ELj1ELb1EJPxPiS1_jEEvDpT3_
		.amdhsa_group_segment_fixed_size 4096
		.amdhsa_private_segment_fixed_size 0
		.amdhsa_kernarg_size 28
		.amdhsa_user_sgpr_count 6
		.amdhsa_user_sgpr_private_segment_buffer 1
		.amdhsa_user_sgpr_dispatch_ptr 0
		.amdhsa_user_sgpr_queue_ptr 0
		.amdhsa_user_sgpr_kernarg_segment_ptr 1
		.amdhsa_user_sgpr_dispatch_id 0
		.amdhsa_user_sgpr_flat_scratch_init 0
		.amdhsa_user_sgpr_kernarg_preload_length 0
		.amdhsa_user_sgpr_kernarg_preload_offset 0
		.amdhsa_user_sgpr_private_segment_size 0
		.amdhsa_uses_dynamic_stack 0
		.amdhsa_system_sgpr_private_segment_wavefront_offset 0
		.amdhsa_system_sgpr_workgroup_id_x 1
		.amdhsa_system_sgpr_workgroup_id_y 0
		.amdhsa_system_sgpr_workgroup_id_z 0
		.amdhsa_system_sgpr_workgroup_info 0
		.amdhsa_system_vgpr_workitem_id 0
		.amdhsa_next_free_vgpr 7
		.amdhsa_next_free_sgpr 16
		.amdhsa_accum_offset 8
		.amdhsa_reserve_vcc 1
		.amdhsa_reserve_flat_scratch 0
		.amdhsa_float_round_mode_32 0
		.amdhsa_float_round_mode_16_64 0
		.amdhsa_float_denorm_mode_32 3
		.amdhsa_float_denorm_mode_16_64 3
		.amdhsa_dx10_clamp 1
		.amdhsa_ieee_mode 1
		.amdhsa_fp16_overflow 0
		.amdhsa_tg_split 0
		.amdhsa_exception_fp_ieee_invalid_op 0
		.amdhsa_exception_fp_denorm_src 0
		.amdhsa_exception_fp_ieee_div_zero 0
		.amdhsa_exception_fp_ieee_overflow 0
		.amdhsa_exception_fp_ieee_underflow 0
		.amdhsa_exception_fp_ieee_inexact 0
		.amdhsa_exception_int_div_zero 0
	.end_amdhsa_kernel
	.section	.text._Z6kernelI26subtract_left_partial_tileLj256ELj1ELb1EJPxPiS1_jEEvDpT3_,"axG",@progbits,_Z6kernelI26subtract_left_partial_tileLj256ELj1ELb1EJPxPiS1_jEEvDpT3_,comdat
.Lfunc_end168:
	.size	_Z6kernelI26subtract_left_partial_tileLj256ELj1ELb1EJPxPiS1_jEEvDpT3_, .Lfunc_end168-_Z6kernelI26subtract_left_partial_tileLj256ELj1ELb1EJPxPiS1_jEEvDpT3_
                                        ; -- End function
	.section	.AMDGPU.csdata,"",@progbits
; Kernel info:
; codeLenInByte = 356
; NumSgprs: 20
; NumVgprs: 7
; NumAgprs: 0
; TotalNumVgprs: 7
; ScratchSize: 0
; MemoryBound: 0
; FloatMode: 240
; IeeeMode: 1
; LDSByteSize: 4096 bytes/workgroup (compile time only)
; SGPRBlocks: 2
; VGPRBlocks: 0
; NumSGPRsForWavesPerEU: 20
; NumVGPRsForWavesPerEU: 7
; AccumOffset: 8
; Occupancy: 8
; WaveLimiterHint : 0
; COMPUTE_PGM_RSRC2:SCRATCH_EN: 0
; COMPUTE_PGM_RSRC2:USER_SGPR: 6
; COMPUTE_PGM_RSRC2:TRAP_HANDLER: 0
; COMPUTE_PGM_RSRC2:TGID_X_EN: 1
; COMPUTE_PGM_RSRC2:TGID_Y_EN: 0
; COMPUTE_PGM_RSRC2:TGID_Z_EN: 0
; COMPUTE_PGM_RSRC2:TIDIG_COMP_CNT: 0
; COMPUTE_PGM_RSRC3_GFX90A:ACCUM_OFFSET: 1
; COMPUTE_PGM_RSRC3_GFX90A:TG_SPLIT: 0
	.section	.text._Z6kernelI26subtract_left_partial_tileLj256ELj3ELb1EJPxPiS1_jEEvDpT3_,"axG",@progbits,_Z6kernelI26subtract_left_partial_tileLj256ELj3ELb1EJPxPiS1_jEEvDpT3_,comdat
	.protected	_Z6kernelI26subtract_left_partial_tileLj256ELj3ELb1EJPxPiS1_jEEvDpT3_ ; -- Begin function _Z6kernelI26subtract_left_partial_tileLj256ELj3ELb1EJPxPiS1_jEEvDpT3_
	.globl	_Z6kernelI26subtract_left_partial_tileLj256ELj3ELb1EJPxPiS1_jEEvDpT3_
	.p2align	8
	.type	_Z6kernelI26subtract_left_partial_tileLj256ELj3ELb1EJPxPiS1_jEEvDpT3_,@function
_Z6kernelI26subtract_left_partial_tileLj256ELj3ELb1EJPxPiS1_jEEvDpT3_: ; @_Z6kernelI26subtract_left_partial_tileLj256ELj3ELb1EJPxPiS1_jEEvDpT3_
; %bb.0:
	s_load_dwordx4 s[0:3], s[4:5], 0x0
	s_load_dwordx2 s[8:9], s[4:5], 0x10
	s_mul_i32 s12, s6, 0x300
	s_mov_b32 s13, 0
	s_lshl_b64 s[10:11], s[12:13], 3
	s_waitcnt lgkmcnt(0)
	s_add_u32 s0, s0, s10
	s_addc_u32 s1, s1, s11
	v_lshlrev_b32_e32 v1, 3, v0
	v_mov_b32_e32 v2, s1
	v_add_co_u32_e32 v6, vcc, s0, v1
	v_addc_co_u32_e32 v7, vcc, 0, v2, vcc
	global_load_dwordx2 v[2:3], v1, s[0:1]
	global_load_dwordx2 v[4:5], v1, s[0:1] offset:2048
	s_movk_i32 s0, 0x1000
	v_add_co_u32_e32 v6, vcc, s0, v6
	v_addc_co_u32_e32 v7, vcc, 0, v7, vcc
	global_load_dwordx2 v[6:7], v[6:7], off
	s_load_dword s4, s[4:5], 0x18
	s_mov_b32 s7, s13
	s_lshl_b64 s[0:1], s[6:7], 2
	s_add_u32 s0, s2, s0
	s_addc_u32 s1, s3, s1
	s_waitcnt lgkmcnt(0)
	v_cvt_f32_u32_e32 v8, s4
	s_load_dword s2, s[0:1], 0x0
	s_sub_i32 s0, 0, s4
	v_mul_u32_u24_e32 v10, 3, v0
	v_rcp_iflag_f32_e32 v8, v8
	v_mad_u32_u24 v11, v0, 3, 2
	v_mad_u32_u24 v12, v0, 3, 1
	v_cmp_ne_u32_e32 vcc, 0, v0
	v_mul_f32_e32 v8, 0x4f7ffffe, v8
	v_cvt_u32_f32_e32 v8, v8
	v_add_u32_e32 v13, -8, v1
	v_readfirstlane_b32 s1, v8
	s_mul_i32 s0, s0, s1
	s_mul_hi_u32 s0, s1, s0
	s_add_i32 s1, s1, s0
	s_mul_hi_u32 s0, s1, 0x300
	s_mul_i32 s1, s0, s4
	s_sub_i32 s1, 0x300, s1
	s_add_i32 s3, s0, 1
	s_sub_i32 s5, s1, s4
	s_cmp_ge_u32 s1, s4
	s_cselect_b32 s0, s3, s0
	s_cselect_b32 s1, s5, s1
	s_add_i32 s3, s0, 1
	s_cmp_ge_u32 s1, s4
	s_cselect_b32 s3, s3, s0
	s_add_i32 s3, s3, 1
	s_max_u32 s4, s4, 1
	s_branch .LBB169_2
.LBB169_1:                              ;   in Loop: Header=BB169_2 Depth=1
	s_or_b64 exec, exec, s[0:1]
	v_cmp_gt_u32_e64 s[0:1], s2, v11
	v_cndmask_b32_e64 v15, 0, v4, s[0:1]
	v_cndmask_b32_e64 v14, 0, v5, s[0:1]
	v_sub_co_u32_e64 v15, s[0:1], v6, v15
	v_subb_co_u32_e64 v14, s[0:1], v7, v14, s[0:1]
	v_cmp_gt_u32_e64 s[0:1], s2, v12
	v_cndmask_b32_e64 v17, 0, v2, s[0:1]
	v_cndmask_b32_e64 v16, 0, v3, s[0:1]
	v_sub_co_u32_e64 v17, s[0:1], v4, v17
	v_subb_co_u32_e64 v16, s[0:1], v5, v16, s[0:1]
	v_cmp_gt_u32_e64 s[0:1], s2, v10
	s_waitcnt lgkmcnt(0)
	v_cndmask_b32_e64 v8, 0, v8, s[0:1]
	v_cndmask_b32_e64 v9, 0, v9, s[0:1]
	v_sub_co_u32_e64 v8, s[0:1], v2, v8
	v_subb_co_u32_e64 v9, s[0:1], v3, v9, s[0:1]
	v_add_co_u32_e64 v2, s[0:1], v8, v2
	v_addc_co_u32_e64 v3, s[0:1], v9, v3, s[0:1]
	v_add_co_u32_e64 v4, s[0:1], v17, v4
	v_addc_co_u32_e64 v5, s[0:1], v16, v5, s[0:1]
	;; [unrolled: 2-line block ×3, first 2 shown]
	s_add_i32 s0, s3, s2
	s_mul_hi_u32 s1, s0, 0xaaaaaaab
	s_lshr_b32 s1, s1, 9
	s_mulk_i32 s1, 0x300
	s_sub_i32 s2, s0, s1
	s_add_i32 s4, s4, -1
	s_cmp_lg_u32 s4, 0
	s_barrier
	s_cbranch_scc0 .LBB169_4
.LBB169_2:                              ; =>This Inner Loop Header: Depth=1
	v_mov_b32_e32 v8, 0x7b
	v_mov_b32_e32 v9, 0
	s_waitcnt vmcnt(0)
	ds_write_b64 v1, v[6:7]
	s_waitcnt lgkmcnt(0)
	s_barrier
	s_and_saveexec_b64 s[0:1], vcc
	s_cbranch_execz .LBB169_1
; %bb.3:                                ;   in Loop: Header=BB169_2 Depth=1
	ds_read_b64 v[8:9], v13
	s_branch .LBB169_1
.LBB169_4:
	s_add_u32 s0, s8, s10
	s_addc_u32 s1, s9, s11
	v_lshlrev_b32_e32 v0, 3, v0
	v_mov_b32_e32 v1, s1
	v_add_co_u32_e32 v8, vcc, s0, v0
	v_addc_co_u32_e32 v1, vcc, 0, v1, vcc
	global_store_dwordx2 v0, v[2:3], s[0:1]
	global_store_dwordx2 v0, v[4:5], s[0:1] offset:2048
	v_add_co_u32_e32 v0, vcc, 0x1000, v8
	v_addc_co_u32_e32 v1, vcc, 0, v1, vcc
	global_store_dwordx2 v[0:1], v[6:7], off
	s_endpgm
	.section	.rodata,"a",@progbits
	.p2align	6, 0x0
	.amdhsa_kernel _Z6kernelI26subtract_left_partial_tileLj256ELj3ELb1EJPxPiS1_jEEvDpT3_
		.amdhsa_group_segment_fixed_size 4096
		.amdhsa_private_segment_fixed_size 0
		.amdhsa_kernarg_size 28
		.amdhsa_user_sgpr_count 6
		.amdhsa_user_sgpr_private_segment_buffer 1
		.amdhsa_user_sgpr_dispatch_ptr 0
		.amdhsa_user_sgpr_queue_ptr 0
		.amdhsa_user_sgpr_kernarg_segment_ptr 1
		.amdhsa_user_sgpr_dispatch_id 0
		.amdhsa_user_sgpr_flat_scratch_init 0
		.amdhsa_user_sgpr_kernarg_preload_length 0
		.amdhsa_user_sgpr_kernarg_preload_offset 0
		.amdhsa_user_sgpr_private_segment_size 0
		.amdhsa_uses_dynamic_stack 0
		.amdhsa_system_sgpr_private_segment_wavefront_offset 0
		.amdhsa_system_sgpr_workgroup_id_x 1
		.amdhsa_system_sgpr_workgroup_id_y 0
		.amdhsa_system_sgpr_workgroup_id_z 0
		.amdhsa_system_sgpr_workgroup_info 0
		.amdhsa_system_vgpr_workitem_id 0
		.amdhsa_next_free_vgpr 18
		.amdhsa_next_free_sgpr 14
		.amdhsa_accum_offset 20
		.amdhsa_reserve_vcc 1
		.amdhsa_reserve_flat_scratch 0
		.amdhsa_float_round_mode_32 0
		.amdhsa_float_round_mode_16_64 0
		.amdhsa_float_denorm_mode_32 3
		.amdhsa_float_denorm_mode_16_64 3
		.amdhsa_dx10_clamp 1
		.amdhsa_ieee_mode 1
		.amdhsa_fp16_overflow 0
		.amdhsa_tg_split 0
		.amdhsa_exception_fp_ieee_invalid_op 0
		.amdhsa_exception_fp_denorm_src 0
		.amdhsa_exception_fp_ieee_div_zero 0
		.amdhsa_exception_fp_ieee_overflow 0
		.amdhsa_exception_fp_ieee_underflow 0
		.amdhsa_exception_fp_ieee_inexact 0
		.amdhsa_exception_int_div_zero 0
	.end_amdhsa_kernel
	.section	.text._Z6kernelI26subtract_left_partial_tileLj256ELj3ELb1EJPxPiS1_jEEvDpT3_,"axG",@progbits,_Z6kernelI26subtract_left_partial_tileLj256ELj3ELb1EJPxPiS1_jEEvDpT3_,comdat
.Lfunc_end169:
	.size	_Z6kernelI26subtract_left_partial_tileLj256ELj3ELb1EJPxPiS1_jEEvDpT3_, .Lfunc_end169-_Z6kernelI26subtract_left_partial_tileLj256ELj3ELb1EJPxPiS1_jEEvDpT3_
                                        ; -- End function
	.section	.AMDGPU.csdata,"",@progbits
; Kernel info:
; codeLenInByte = 596
; NumSgprs: 18
; NumVgprs: 18
; NumAgprs: 0
; TotalNumVgprs: 18
; ScratchSize: 0
; MemoryBound: 0
; FloatMode: 240
; IeeeMode: 1
; LDSByteSize: 4096 bytes/workgroup (compile time only)
; SGPRBlocks: 2
; VGPRBlocks: 2
; NumSGPRsForWavesPerEU: 18
; NumVGPRsForWavesPerEU: 18
; AccumOffset: 20
; Occupancy: 8
; WaveLimiterHint : 1
; COMPUTE_PGM_RSRC2:SCRATCH_EN: 0
; COMPUTE_PGM_RSRC2:USER_SGPR: 6
; COMPUTE_PGM_RSRC2:TRAP_HANDLER: 0
; COMPUTE_PGM_RSRC2:TGID_X_EN: 1
; COMPUTE_PGM_RSRC2:TGID_Y_EN: 0
; COMPUTE_PGM_RSRC2:TGID_Z_EN: 0
; COMPUTE_PGM_RSRC2:TIDIG_COMP_CNT: 0
; COMPUTE_PGM_RSRC3_GFX90A:ACCUM_OFFSET: 4
; COMPUTE_PGM_RSRC3_GFX90A:TG_SPLIT: 0
	.section	.text._Z6kernelI26subtract_left_partial_tileLj256ELj4ELb1EJPxPiS1_jEEvDpT3_,"axG",@progbits,_Z6kernelI26subtract_left_partial_tileLj256ELj4ELb1EJPxPiS1_jEEvDpT3_,comdat
	.protected	_Z6kernelI26subtract_left_partial_tileLj256ELj4ELb1EJPxPiS1_jEEvDpT3_ ; -- Begin function _Z6kernelI26subtract_left_partial_tileLj256ELj4ELb1EJPxPiS1_jEEvDpT3_
	.globl	_Z6kernelI26subtract_left_partial_tileLj256ELj4ELb1EJPxPiS1_jEEvDpT3_
	.p2align	8
	.type	_Z6kernelI26subtract_left_partial_tileLj256ELj4ELb1EJPxPiS1_jEEvDpT3_,@function
_Z6kernelI26subtract_left_partial_tileLj256ELj4ELb1EJPxPiS1_jEEvDpT3_: ; @_Z6kernelI26subtract_left_partial_tileLj256ELj4ELb1EJPxPiS1_jEEvDpT3_
; %bb.0:
	s_load_dwordx4 s[0:3], s[4:5], 0x0
	s_load_dwordx2 s[8:9], s[4:5], 0x10
	s_lshl_b32 s12, s6, 10
	s_mov_b32 s13, 0
	s_lshl_b64 s[10:11], s[12:13], 3
	s_waitcnt lgkmcnt(0)
	s_add_u32 s0, s0, s10
	s_addc_u32 s1, s1, s11
	v_lshlrev_b32_e32 v1, 3, v0
	v_mov_b32_e32 v2, s1
	v_add_co_u32_e32 v6, vcc, s0, v1
	v_addc_co_u32_e32 v7, vcc, 0, v2, vcc
	global_load_dwordx2 v[2:3], v1, s[0:1]
	global_load_dwordx2 v[4:5], v1, s[0:1] offset:2048
	s_movk_i32 s0, 0x1000
	v_add_co_u32_e32 v10, vcc, s0, v6
	v_addc_co_u32_e32 v11, vcc, 0, v7, vcc
	global_load_dwordx2 v[6:7], v[10:11], off
	global_load_dwordx2 v[8:9], v[10:11], off offset:2048
	s_load_dword s4, s[4:5], 0x18
	s_mov_b32 s7, s13
	s_lshl_b64 s[0:1], s[6:7], 2
	s_add_u32 s0, s2, s0
	s_addc_u32 s1, s3, s1
	s_waitcnt lgkmcnt(0)
	v_cvt_f32_u32_e32 v10, s4
	s_load_dword s2, s[0:1], 0x0
	s_sub_i32 s0, 0, s4
	v_lshlrev_b32_e32 v12, 2, v0
	v_rcp_iflag_f32_e32 v10, v10
	v_or_b32_e32 v13, 3, v12
	v_or_b32_e32 v14, 2, v12
	;; [unrolled: 1-line block ×3, first 2 shown]
	v_mul_f32_e32 v10, 0x4f7ffffe, v10
	v_cvt_u32_f32_e32 v10, v10
	v_cmp_ne_u32_e32 vcc, 0, v0
	v_add_u32_e32 v16, -8, v1
	v_readfirstlane_b32 s1, v10
	s_mul_i32 s0, s0, s1
	s_mul_hi_u32 s0, s1, s0
	s_add_i32 s1, s1, s0
	s_lshr_b32 s0, s1, 22
	s_mul_i32 s1, s0, s4
	s_sub_i32 s1, 0x400, s1
	s_add_i32 s3, s0, 1
	s_sub_i32 s5, s1, s4
	s_cmp_ge_u32 s1, s4
	s_cselect_b32 s0, s3, s0
	s_cselect_b32 s1, s5, s1
	s_add_i32 s3, s0, 1
	s_cmp_ge_u32 s1, s4
	s_cselect_b32 s3, s3, s0
	s_add_i32 s3, s3, 1
	s_max_u32 s4, s4, 1
	s_branch .LBB170_2
.LBB170_1:                              ;   in Loop: Header=BB170_2 Depth=1
	s_or_b64 exec, exec, s[0:1]
	v_cmp_gt_u32_e64 s[0:1], s2, v13
	v_cndmask_b32_e64 v18, 0, v6, s[0:1]
	v_cndmask_b32_e64 v17, 0, v7, s[0:1]
	v_sub_co_u32_e64 v18, s[0:1], v8, v18
	v_subb_co_u32_e64 v17, s[0:1], v9, v17, s[0:1]
	v_cmp_gt_u32_e64 s[0:1], s2, v14
	v_cndmask_b32_e64 v20, 0, v4, s[0:1]
	v_cndmask_b32_e64 v19, 0, v5, s[0:1]
	v_sub_co_u32_e64 v20, s[0:1], v6, v20
	v_subb_co_u32_e64 v19, s[0:1], v7, v19, s[0:1]
	v_cmp_gt_u32_e64 s[0:1], s2, v15
	v_cndmask_b32_e64 v22, 0, v2, s[0:1]
	v_cndmask_b32_e64 v21, 0, v3, s[0:1]
	v_sub_co_u32_e64 v22, s[0:1], v4, v22
	v_subb_co_u32_e64 v21, s[0:1], v5, v21, s[0:1]
	v_cmp_gt_u32_e64 s[0:1], s2, v12
	s_waitcnt lgkmcnt(0)
	v_cndmask_b32_e64 v10, 0, v10, s[0:1]
	v_cndmask_b32_e64 v11, 0, v11, s[0:1]
	v_sub_co_u32_e64 v10, s[0:1], v2, v10
	v_subb_co_u32_e64 v11, s[0:1], v3, v11, s[0:1]
	v_add_co_u32_e64 v2, s[0:1], v10, v2
	v_addc_co_u32_e64 v3, s[0:1], v11, v3, s[0:1]
	v_add_co_u32_e64 v4, s[0:1], v22, v4
	v_addc_co_u32_e64 v5, s[0:1], v21, v5, s[0:1]
	;; [unrolled: 2-line block ×4, first 2 shown]
	s_add_i32 s0, s3, s2
	s_and_b32 s2, s0, 0x3ff
	s_add_i32 s4, s4, -1
	s_cmp_lg_u32 s4, 0
	s_barrier
	s_cbranch_scc0 .LBB170_4
.LBB170_2:                              ; =>This Inner Loop Header: Depth=1
	v_mov_b32_e32 v10, 0x7b
	v_mov_b32_e32 v11, 0
	s_waitcnt vmcnt(0)
	ds_write_b64 v1, v[8:9]
	s_waitcnt lgkmcnt(0)
	s_barrier
	s_and_saveexec_b64 s[0:1], vcc
	s_cbranch_execz .LBB170_1
; %bb.3:                                ;   in Loop: Header=BB170_2 Depth=1
	ds_read_b64 v[10:11], v16
	s_branch .LBB170_1
.LBB170_4:
	s_add_u32 s0, s8, s10
	s_addc_u32 s1, s9, s11
	v_lshlrev_b32_e32 v0, 3, v0
	v_mov_b32_e32 v1, s1
	v_add_co_u32_e32 v10, vcc, s0, v0
	v_addc_co_u32_e32 v1, vcc, 0, v1, vcc
	global_store_dwordx2 v0, v[2:3], s[0:1]
	global_store_dwordx2 v0, v[4:5], s[0:1] offset:2048
	v_add_co_u32_e32 v0, vcc, 0x1000, v10
	v_addc_co_u32_e32 v1, vcc, 0, v1, vcc
	global_store_dwordx2 v[0:1], v[6:7], off
	global_store_dwordx2 v[0:1], v[8:9], off offset:2048
	s_endpgm
	.section	.rodata,"a",@progbits
	.p2align	6, 0x0
	.amdhsa_kernel _Z6kernelI26subtract_left_partial_tileLj256ELj4ELb1EJPxPiS1_jEEvDpT3_
		.amdhsa_group_segment_fixed_size 4096
		.amdhsa_private_segment_fixed_size 0
		.amdhsa_kernarg_size 28
		.amdhsa_user_sgpr_count 6
		.amdhsa_user_sgpr_private_segment_buffer 1
		.amdhsa_user_sgpr_dispatch_ptr 0
		.amdhsa_user_sgpr_queue_ptr 0
		.amdhsa_user_sgpr_kernarg_segment_ptr 1
		.amdhsa_user_sgpr_dispatch_id 0
		.amdhsa_user_sgpr_flat_scratch_init 0
		.amdhsa_user_sgpr_kernarg_preload_length 0
		.amdhsa_user_sgpr_kernarg_preload_offset 0
		.amdhsa_user_sgpr_private_segment_size 0
		.amdhsa_uses_dynamic_stack 0
		.amdhsa_system_sgpr_private_segment_wavefront_offset 0
		.amdhsa_system_sgpr_workgroup_id_x 1
		.amdhsa_system_sgpr_workgroup_id_y 0
		.amdhsa_system_sgpr_workgroup_id_z 0
		.amdhsa_system_sgpr_workgroup_info 0
		.amdhsa_system_vgpr_workitem_id 0
		.amdhsa_next_free_vgpr 23
		.amdhsa_next_free_sgpr 14
		.amdhsa_accum_offset 24
		.amdhsa_reserve_vcc 1
		.amdhsa_reserve_flat_scratch 0
		.amdhsa_float_round_mode_32 0
		.amdhsa_float_round_mode_16_64 0
		.amdhsa_float_denorm_mode_32 3
		.amdhsa_float_denorm_mode_16_64 3
		.amdhsa_dx10_clamp 1
		.amdhsa_ieee_mode 1
		.amdhsa_fp16_overflow 0
		.amdhsa_tg_split 0
		.amdhsa_exception_fp_ieee_invalid_op 0
		.amdhsa_exception_fp_denorm_src 0
		.amdhsa_exception_fp_ieee_div_zero 0
		.amdhsa_exception_fp_ieee_overflow 0
		.amdhsa_exception_fp_ieee_underflow 0
		.amdhsa_exception_fp_ieee_inexact 0
		.amdhsa_exception_int_div_zero 0
	.end_amdhsa_kernel
	.section	.text._Z6kernelI26subtract_left_partial_tileLj256ELj4ELb1EJPxPiS1_jEEvDpT3_,"axG",@progbits,_Z6kernelI26subtract_left_partial_tileLj256ELj4ELb1EJPxPiS1_jEEvDpT3_,comdat
.Lfunc_end170:
	.size	_Z6kernelI26subtract_left_partial_tileLj256ELj4ELb1EJPxPiS1_jEEvDpT3_, .Lfunc_end170-_Z6kernelI26subtract_left_partial_tileLj256ELj4ELb1EJPxPiS1_jEEvDpT3_
                                        ; -- End function
	.section	.AMDGPU.csdata,"",@progbits
; Kernel info:
; codeLenInByte = 644
; NumSgprs: 18
; NumVgprs: 23
; NumAgprs: 0
; TotalNumVgprs: 23
; ScratchSize: 0
; MemoryBound: 0
; FloatMode: 240
; IeeeMode: 1
; LDSByteSize: 4096 bytes/workgroup (compile time only)
; SGPRBlocks: 2
; VGPRBlocks: 2
; NumSGPRsForWavesPerEU: 18
; NumVGPRsForWavesPerEU: 23
; AccumOffset: 24
; Occupancy: 8
; WaveLimiterHint : 1
; COMPUTE_PGM_RSRC2:SCRATCH_EN: 0
; COMPUTE_PGM_RSRC2:USER_SGPR: 6
; COMPUTE_PGM_RSRC2:TRAP_HANDLER: 0
; COMPUTE_PGM_RSRC2:TGID_X_EN: 1
; COMPUTE_PGM_RSRC2:TGID_Y_EN: 0
; COMPUTE_PGM_RSRC2:TGID_Z_EN: 0
; COMPUTE_PGM_RSRC2:TIDIG_COMP_CNT: 0
; COMPUTE_PGM_RSRC3_GFX90A:ACCUM_OFFSET: 5
; COMPUTE_PGM_RSRC3_GFX90A:TG_SPLIT: 0
	.section	.text._Z6kernelI26subtract_left_partial_tileLj256ELj8ELb1EJPxPiS1_jEEvDpT3_,"axG",@progbits,_Z6kernelI26subtract_left_partial_tileLj256ELj8ELb1EJPxPiS1_jEEvDpT3_,comdat
	.protected	_Z6kernelI26subtract_left_partial_tileLj256ELj8ELb1EJPxPiS1_jEEvDpT3_ ; -- Begin function _Z6kernelI26subtract_left_partial_tileLj256ELj8ELb1EJPxPiS1_jEEvDpT3_
	.globl	_Z6kernelI26subtract_left_partial_tileLj256ELj8ELb1EJPxPiS1_jEEvDpT3_
	.p2align	8
	.type	_Z6kernelI26subtract_left_partial_tileLj256ELj8ELb1EJPxPiS1_jEEvDpT3_,@function
_Z6kernelI26subtract_left_partial_tileLj256ELj8ELb1EJPxPiS1_jEEvDpT3_: ; @_Z6kernelI26subtract_left_partial_tileLj256ELj8ELb1EJPxPiS1_jEEvDpT3_
; %bb.0:
	s_load_dwordx4 s[0:3], s[4:5], 0x0
	s_load_dwordx2 s[8:9], s[4:5], 0x10
	s_lshl_b32 s12, s6, 11
	s_mov_b32 s13, 0
	s_lshl_b64 s[10:11], s[12:13], 3
	s_waitcnt lgkmcnt(0)
	s_add_u32 s0, s0, s10
	s_addc_u32 s1, s1, s11
	v_lshlrev_b32_e32 v1, 3, v0
	v_mov_b32_e32 v2, s1
	v_add_co_u32_e32 v12, vcc, s0, v1
	v_addc_co_u32_e32 v13, vcc, 0, v2, vcc
	global_load_dwordx2 v[4:5], v1, s[0:1]
	global_load_dwordx2 v[2:3], v1, s[0:1] offset:2048
	s_movk_i32 s0, 0x1000
	v_add_co_u32_e32 v18, vcc, s0, v12
	v_addc_co_u32_e32 v19, vcc, 0, v13, vcc
	s_movk_i32 s0, 0x2000
	v_add_co_u32_e32 v10, vcc, s0, v12
	v_addc_co_u32_e32 v11, vcc, 0, v13, vcc
	s_movk_i32 s0, 0x3000
	v_add_co_u32_e32 v20, vcc, s0, v12
	global_load_dwordx2 v[14:15], v[10:11], off offset:-4096
	global_load_dwordx2 v[8:9], v[10:11], off
	global_load_dwordx2 v[6:7], v[10:11], off offset:2048
	v_addc_co_u32_e32 v21, vcc, 0, v13, vcc
	global_load_dwordx2 v[16:17], v[18:19], off offset:2048
	global_load_dwordx2 v[10:11], v[20:21], off
	global_load_dwordx2 v[12:13], v[20:21], off offset:2048
	s_load_dword s4, s[4:5], 0x18
	s_mov_b32 s7, s13
	s_lshl_b64 s[0:1], s[6:7], 2
	s_add_u32 s0, s2, s0
	s_addc_u32 s1, s3, s1
	s_waitcnt lgkmcnt(0)
	v_cvt_f32_u32_e32 v18, s4
	s_load_dword s2, s[0:1], 0x0
	s_sub_i32 s0, 0, s4
	v_or_b32_e32 v20, 7, v1
	v_rcp_iflag_f32_e32 v18, v18
	v_or_b32_e32 v21, 6, v1
	v_or_b32_e32 v22, 5, v1
	;; [unrolled: 1-line block ×3, first 2 shown]
	v_mul_f32_e32 v18, 0x4f7ffffe, v18
	v_cvt_u32_f32_e32 v18, v18
	v_or_b32_e32 v24, 3, v1
	v_or_b32_e32 v25, 2, v1
	v_or_b32_e32 v26, 1, v1
	v_readfirstlane_b32 s1, v18
	s_mul_i32 s0, s0, s1
	s_mul_hi_u32 s0, s1, s0
	s_add_i32 s1, s1, s0
	s_lshr_b32 s0, s1, 21
	s_mul_i32 s1, s0, s4
	s_sub_i32 s1, 0x800, s1
	s_add_i32 s3, s0, 1
	s_sub_i32 s5, s1, s4
	s_cmp_ge_u32 s1, s4
	s_cselect_b32 s0, s3, s0
	s_cselect_b32 s1, s5, s1
	s_add_i32 s3, s0, 1
	s_cmp_ge_u32 s1, s4
	s_cselect_b32 s3, s3, s0
	s_add_i32 s3, s3, 1
	v_cmp_ne_u32_e32 vcc, 0, v0
	v_add_u32_e32 v27, -8, v1
	s_max_u32 s4, s4, 1
	s_branch .LBB171_2
.LBB171_1:                              ;   in Loop: Header=BB171_2 Depth=1
	s_or_b64 exec, exec, s[0:1]
	v_cmp_gt_u32_e64 s[0:1], s2, v20
	v_cndmask_b32_e64 v29, 0, v10, s[0:1]
	v_cndmask_b32_e64 v28, 0, v11, s[0:1]
	v_sub_co_u32_e64 v29, s[0:1], v12, v29
	v_subb_co_u32_e64 v28, s[0:1], v13, v28, s[0:1]
	v_cmp_gt_u32_e64 s[0:1], s2, v21
	v_cndmask_b32_e64 v31, 0, v6, s[0:1]
	v_cndmask_b32_e64 v30, 0, v7, s[0:1]
	v_sub_co_u32_e64 v31, s[0:1], v10, v31
	v_subb_co_u32_e64 v30, s[0:1], v11, v30, s[0:1]
	;; [unrolled: 5-line block ×7, first 2 shown]
	v_cmp_gt_u32_e64 s[0:1], s2, v1
	s_waitcnt lgkmcnt(0)
	v_cndmask_b32_e64 v18, 0, v18, s[0:1]
	v_cndmask_b32_e64 v19, 0, v19, s[0:1]
	v_sub_co_u32_e64 v18, s[0:1], v4, v18
	v_subb_co_u32_e64 v19, s[0:1], v5, v19, s[0:1]
	v_add_co_u32_e64 v4, s[0:1], v18, v4
	v_addc_co_u32_e64 v5, s[0:1], v19, v5, s[0:1]
	v_add_co_u32_e64 v2, s[0:1], v41, v2
	v_addc_co_u32_e64 v3, s[0:1], v40, v3, s[0:1]
	;; [unrolled: 2-line block ×8, first 2 shown]
	s_add_i32 s0, s3, s2
	s_and_b32 s2, s0, 0x7ff
	s_add_i32 s4, s4, -1
	s_cmp_lg_u32 s4, 0
	s_barrier
	s_cbranch_scc0 .LBB171_4
.LBB171_2:                              ; =>This Inner Loop Header: Depth=1
	v_mov_b32_e32 v18, 0x7b
	v_mov_b32_e32 v19, 0
	s_waitcnt vmcnt(0)
	ds_write_b64 v1, v[12:13]
	s_waitcnt lgkmcnt(0)
	s_barrier
	s_and_saveexec_b64 s[0:1], vcc
	s_cbranch_execz .LBB171_1
; %bb.3:                                ;   in Loop: Header=BB171_2 Depth=1
	ds_read_b64 v[18:19], v27
	s_branch .LBB171_1
.LBB171_4:
	s_add_u32 s0, s8, s10
	s_addc_u32 s1, s9, s11
	v_lshlrev_b32_e32 v0, 3, v0
	v_mov_b32_e32 v1, s1
	v_add_co_u32_e32 v18, vcc, s0, v0
	v_addc_co_u32_e32 v19, vcc, 0, v1, vcc
	global_store_dwordx2 v0, v[4:5], s[0:1]
	global_store_dwordx2 v0, v[2:3], s[0:1] offset:2048
	v_add_co_u32_e32 v0, vcc, 0x1000, v18
	v_addc_co_u32_e32 v1, vcc, 0, v19, vcc
	global_store_dwordx2 v[0:1], v[14:15], off
	global_store_dwordx2 v[0:1], v[16:17], off offset:2048
	v_add_co_u32_e32 v0, vcc, 0x2000, v18
	v_addc_co_u32_e32 v1, vcc, 0, v19, vcc
	global_store_dwordx2 v[0:1], v[8:9], off
	global_store_dwordx2 v[0:1], v[6:7], off offset:2048
	;; [unrolled: 4-line block ×3, first 2 shown]
	s_endpgm
	.section	.rodata,"a",@progbits
	.p2align	6, 0x0
	.amdhsa_kernel _Z6kernelI26subtract_left_partial_tileLj256ELj8ELb1EJPxPiS1_jEEvDpT3_
		.amdhsa_group_segment_fixed_size 4096
		.amdhsa_private_segment_fixed_size 0
		.amdhsa_kernarg_size 28
		.amdhsa_user_sgpr_count 6
		.amdhsa_user_sgpr_private_segment_buffer 1
		.amdhsa_user_sgpr_dispatch_ptr 0
		.amdhsa_user_sgpr_queue_ptr 0
		.amdhsa_user_sgpr_kernarg_segment_ptr 1
		.amdhsa_user_sgpr_dispatch_id 0
		.amdhsa_user_sgpr_flat_scratch_init 0
		.amdhsa_user_sgpr_kernarg_preload_length 0
		.amdhsa_user_sgpr_kernarg_preload_offset 0
		.amdhsa_user_sgpr_private_segment_size 0
		.amdhsa_uses_dynamic_stack 0
		.amdhsa_system_sgpr_private_segment_wavefront_offset 0
		.amdhsa_system_sgpr_workgroup_id_x 1
		.amdhsa_system_sgpr_workgroup_id_y 0
		.amdhsa_system_sgpr_workgroup_id_z 0
		.amdhsa_system_sgpr_workgroup_info 0
		.amdhsa_system_vgpr_workitem_id 0
		.amdhsa_next_free_vgpr 42
		.amdhsa_next_free_sgpr 14
		.amdhsa_accum_offset 44
		.amdhsa_reserve_vcc 1
		.amdhsa_reserve_flat_scratch 0
		.amdhsa_float_round_mode_32 0
		.amdhsa_float_round_mode_16_64 0
		.amdhsa_float_denorm_mode_32 3
		.amdhsa_float_denorm_mode_16_64 3
		.amdhsa_dx10_clamp 1
		.amdhsa_ieee_mode 1
		.amdhsa_fp16_overflow 0
		.amdhsa_tg_split 0
		.amdhsa_exception_fp_ieee_invalid_op 0
		.amdhsa_exception_fp_denorm_src 0
		.amdhsa_exception_fp_ieee_div_zero 0
		.amdhsa_exception_fp_ieee_overflow 0
		.amdhsa_exception_fp_ieee_underflow 0
		.amdhsa_exception_fp_ieee_inexact 0
		.amdhsa_exception_int_div_zero 0
	.end_amdhsa_kernel
	.section	.text._Z6kernelI26subtract_left_partial_tileLj256ELj8ELb1EJPxPiS1_jEEvDpT3_,"axG",@progbits,_Z6kernelI26subtract_left_partial_tileLj256ELj8ELb1EJPxPiS1_jEEvDpT3_,comdat
.Lfunc_end171:
	.size	_Z6kernelI26subtract_left_partial_tileLj256ELj8ELb1EJPxPiS1_jEEvDpT3_, .Lfunc_end171-_Z6kernelI26subtract_left_partial_tileLj256ELj8ELb1EJPxPiS1_jEEvDpT3_
                                        ; -- End function
	.section	.AMDGPU.csdata,"",@progbits
; Kernel info:
; codeLenInByte = 992
; NumSgprs: 18
; NumVgprs: 42
; NumAgprs: 0
; TotalNumVgprs: 42
; ScratchSize: 0
; MemoryBound: 0
; FloatMode: 240
; IeeeMode: 1
; LDSByteSize: 4096 bytes/workgroup (compile time only)
; SGPRBlocks: 2
; VGPRBlocks: 5
; NumSGPRsForWavesPerEU: 18
; NumVGPRsForWavesPerEU: 42
; AccumOffset: 44
; Occupancy: 8
; WaveLimiterHint : 1
; COMPUTE_PGM_RSRC2:SCRATCH_EN: 0
; COMPUTE_PGM_RSRC2:USER_SGPR: 6
; COMPUTE_PGM_RSRC2:TRAP_HANDLER: 0
; COMPUTE_PGM_RSRC2:TGID_X_EN: 1
; COMPUTE_PGM_RSRC2:TGID_Y_EN: 0
; COMPUTE_PGM_RSRC2:TGID_Z_EN: 0
; COMPUTE_PGM_RSRC2:TIDIG_COMP_CNT: 0
; COMPUTE_PGM_RSRC3_GFX90A:ACCUM_OFFSET: 10
; COMPUTE_PGM_RSRC3_GFX90A:TG_SPLIT: 0
	.section	.text._Z6kernelI26subtract_left_partial_tileLj256ELj16ELb1EJPxPiS1_jEEvDpT3_,"axG",@progbits,_Z6kernelI26subtract_left_partial_tileLj256ELj16ELb1EJPxPiS1_jEEvDpT3_,comdat
	.protected	_Z6kernelI26subtract_left_partial_tileLj256ELj16ELb1EJPxPiS1_jEEvDpT3_ ; -- Begin function _Z6kernelI26subtract_left_partial_tileLj256ELj16ELb1EJPxPiS1_jEEvDpT3_
	.globl	_Z6kernelI26subtract_left_partial_tileLj256ELj16ELb1EJPxPiS1_jEEvDpT3_
	.p2align	8
	.type	_Z6kernelI26subtract_left_partial_tileLj256ELj16ELb1EJPxPiS1_jEEvDpT3_,@function
_Z6kernelI26subtract_left_partial_tileLj256ELj16ELb1EJPxPiS1_jEEvDpT3_: ; @_Z6kernelI26subtract_left_partial_tileLj256ELj16ELb1EJPxPiS1_jEEvDpT3_
; %bb.0:
	s_load_dwordx4 s[0:3], s[4:5], 0x0
	s_load_dwordx2 s[8:9], s[4:5], 0x10
	s_lshl_b32 s12, s6, 12
	s_mov_b32 s13, 0
	s_lshl_b64 s[10:11], s[12:13], 3
	s_waitcnt lgkmcnt(0)
	s_add_u32 s0, s0, s10
	s_addc_u32 s1, s1, s11
	v_lshlrev_b32_e32 v1, 3, v0
	v_mov_b32_e32 v2, s1
	v_add_co_u32_e32 v28, vcc, s0, v1
	v_addc_co_u32_e32 v29, vcc, 0, v2, vcc
	global_load_dwordx2 v[4:5], v1, s[0:1]
	global_load_dwordx2 v[2:3], v1, s[0:1] offset:2048
	s_movk_i32 s0, 0x1000
	v_add_co_u32_e32 v34, vcc, s0, v28
	v_addc_co_u32_e32 v35, vcc, 0, v29, vcc
	s_movk_i32 s0, 0x2000
	v_add_co_u32_e32 v6, vcc, s0, v28
	v_addc_co_u32_e32 v7, vcc, 0, v29, vcc
	s_movk_i32 s0, 0x3000
	v_add_co_u32_e32 v36, vcc, s0, v28
	v_addc_co_u32_e32 v37, vcc, 0, v29, vcc
	s_movk_i32 s0, 0x4000
	v_add_co_u32_e32 v12, vcc, s0, v28
	v_addc_co_u32_e32 v13, vcc, 0, v29, vcc
	s_movk_i32 s0, 0x5000
	v_add_co_u32_e32 v38, vcc, s0, v28
	v_addc_co_u32_e32 v39, vcc, 0, v29, vcc
	s_movk_i32 s0, 0x6000
	v_add_co_u32_e32 v20, vcc, s0, v28
	v_addc_co_u32_e32 v21, vcc, 0, v29, vcc
	s_movk_i32 s0, 0x7000
	v_add_co_u32_e32 v40, vcc, s0, v28
	global_load_dwordx2 v[26:27], v[6:7], off offset:-4096
	global_load_dwordx2 v[18:19], v[6:7], off
	global_load_dwordx2 v[16:17], v[6:7], off offset:2048
	global_load_dwordx2 v[10:11], v[12:13], off offset:-4096
	global_load_dwordx2 v[24:25], v[12:13], off
	global_load_dwordx2 v[22:23], v[12:13], off offset:2048
	;; [unrolled: 3-line block ×3, first 2 shown]
	v_addc_co_u32_e32 v41, vcc, 0, v29, vcc
	global_load_dwordx2 v[32:33], v[34:35], off offset:2048
	global_load_dwordx2 v[30:31], v[36:37], off offset:2048
	;; [unrolled: 1-line block ×3, first 2 shown]
	global_load_dwordx2 v[12:13], v[40:41], off
	global_load_dwordx2 v[20:21], v[40:41], off offset:2048
	s_load_dword s12, s[4:5], 0x18
	s_mov_b32 s7, s13
	s_lshl_b64 s[0:1], s[6:7], 2
	s_add_u32 s0, s2, s0
	s_addc_u32 s1, s3, s1
	s_waitcnt lgkmcnt(0)
	v_cvt_f32_u32_e32 v34, s12
	s_load_dword s4, s[0:1], 0x0
	s_sub_i32 s0, 0, s12
	v_lshlrev_b32_e32 v36, 4, v0
	v_rcp_iflag_f32_e32 v34, v34
	v_or_b32_e32 v37, 15, v36
	v_or_b32_e32 v38, 14, v36
	;; [unrolled: 1-line block ×3, first 2 shown]
	v_mul_f32_e32 v34, 0x4f7ffffe, v34
	v_cvt_u32_f32_e32 v34, v34
	v_or_b32_e32 v40, 12, v36
	v_or_b32_e32 v41, 11, v36
	;; [unrolled: 1-line block ×3, first 2 shown]
	v_readfirstlane_b32 s1, v34
	s_mul_i32 s0, s0, s1
	s_mul_hi_u32 s0, s1, s0
	s_add_i32 s1, s1, s0
	s_lshr_b32 s0, s1, 20
	s_mul_i32 s1, s0, s12
	s_sub_i32 s1, 0x1000, s1
	s_add_i32 s2, s0, 1
	s_sub_i32 s3, s1, s12
	s_cmp_ge_u32 s1, s12
	s_cselect_b32 s0, s2, s0
	s_cselect_b32 s1, s3, s1
	s_add_i32 s2, s0, 1
	s_cmp_ge_u32 s1, s12
	s_cselect_b32 s5, s2, s0
	s_add_i32 s5, s5, 1
	v_or_b32_e32 v43, 9, v36
	v_or_b32_e32 v44, 8, v36
	;; [unrolled: 1-line block ×9, first 2 shown]
	v_cmp_ne_u32_e32 vcc, 0, v0
	v_add_u32_e32 v52, -8, v1
	s_max_u32 s6, s12, 1
	s_branch .LBB172_2
.LBB172_1:                              ;   in Loop: Header=BB172_2 Depth=1
	s_or_b64 exec, exec, s[0:1]
	v_cmp_gt_u32_e64 s[0:1], s4, v37
	v_cndmask_b32_e64 v54, 0, v12, s[0:1]
	v_cndmask_b32_e64 v53, 0, v13, s[0:1]
	v_sub_co_u32_e64 v54, s[0:1], v20, v54
	v_subb_co_u32_e64 v53, s[0:1], v21, v53, s[0:1]
	v_cmp_gt_u32_e64 s[0:1], s4, v38
	v_cndmask_b32_e64 v56, 0, v6, s[0:1]
	v_cndmask_b32_e64 v55, 0, v7, s[0:1]
	v_sub_co_u32_e64 v56, s[0:1], v12, v56
	v_subb_co_u32_e64 v55, s[0:1], v13, v55, s[0:1]
	;; [unrolled: 5-line block ×4, first 2 shown]
	v_cmp_gt_u32_e64 s[2:3], s4, v36
	v_cmp_gt_u32_e64 s[0:1], s4, v51
	s_waitcnt lgkmcnt(0)
	v_cndmask_b32_e64 v34, 0, v34, s[2:3]
	v_cndmask_b32_e64 v61, 0, v5, s[0:1]
	;; [unrolled: 1-line block ×4, first 2 shown]
	v_sub_co_u32_e64 v34, s[0:1], v4, v34
	v_subb_co_u32_e64 v35, s[0:1], v5, v35, s[0:1]
	v_add_co_u32_e64 v4, s[0:1], v34, v4
	v_addc_co_u32_e64 v5, s[0:1], v35, v5, s[0:1]
	v_sub_co_u32_e64 v62, s[0:1], v2, v62
	v_cmp_gt_u32_e64 s[2:3], s4, v50
	v_subb_co_u32_e64 v61, s[0:1], v3, v61, s[0:1]
	v_cndmask_b32_e64 v35, 0, v2, s[2:3]
	v_add_co_u32_e64 v2, s[0:1], v62, v2
	v_cndmask_b32_e64 v34, 0, v3, s[2:3]
	v_addc_co_u32_e64 v3, s[0:1], v61, v3, s[0:1]
	v_sub_co_u32_e64 v35, s[0:1], v26, v35
	v_cmp_gt_u32_e64 s[2:3], s4, v49
	v_subb_co_u32_e64 v34, s[0:1], v27, v34, s[0:1]
	v_cndmask_b32_e64 v61, 0, v26, s[2:3]
	v_add_co_u32_e64 v26, s[0:1], v35, v26
	v_cndmask_b32_e64 v62, 0, v27, s[2:3]
	;; [unrolled: 7-line block ×8, first 2 shown]
	v_addc_co_u32_e64 v25, s[0:1], v35, v25, s[0:1]
	v_sub_co_u32_e64 v62, s[0:1], v22, v62
	v_cmp_gt_u32_e64 s[2:3], s4, v42
	v_subb_co_u32_e64 v61, s[0:1], v23, v61, s[0:1]
	v_cndmask_b32_e64 v34, 0, v23, s[2:3]
	v_cndmask_b32_e64 v35, 0, v22, s[2:3]
	v_add_co_u32_e64 v22, s[0:1], v62, v22
	v_cmp_gt_u32_e64 s[2:3], s4, v41
	v_addc_co_u32_e64 v23, s[0:1], v61, v23, s[0:1]
	v_cndmask_b32_e64 v61, 0, v14, s[2:3]
	v_cndmask_b32_e64 v62, 0, v15, s[2:3]
	v_sub_co_u32_e64 v61, s[0:1], v28, v61
	v_subb_co_u32_e64 v62, s[0:1], v29, v62, s[0:1]
	v_sub_co_u32_e64 v35, s[0:1], v14, v35
	v_subb_co_u32_e64 v34, s[0:1], v15, v34, s[0:1]
	v_add_co_u32_e64 v14, s[0:1], v35, v14
	v_addc_co_u32_e64 v15, s[0:1], v34, v15, s[0:1]
	v_add_co_u32_e64 v28, s[0:1], v61, v28
	v_addc_co_u32_e64 v29, s[0:1], v62, v29, s[0:1]
	;; [unrolled: 2-line block ×6, first 2 shown]
	s_add_i32 s0, s5, s4
	s_and_b32 s4, s0, 0xfff
	s_add_i32 s6, s6, -1
	s_cmp_lg_u32 s6, 0
	s_barrier
	s_cbranch_scc0 .LBB172_4
.LBB172_2:                              ; =>This Inner Loop Header: Depth=1
	v_mov_b32_e32 v34, 0x7b
	v_mov_b32_e32 v35, 0
	s_waitcnt vmcnt(0)
	ds_write_b64 v1, v[20:21]
	s_waitcnt lgkmcnt(0)
	s_barrier
	s_and_saveexec_b64 s[0:1], vcc
	s_cbranch_execz .LBB172_1
; %bb.3:                                ;   in Loop: Header=BB172_2 Depth=1
	ds_read_b64 v[34:35], v52
	s_branch .LBB172_1
.LBB172_4:
	s_add_u32 s0, s8, s10
	s_addc_u32 s1, s9, s11
	v_lshlrev_b32_e32 v0, 3, v0
	v_mov_b32_e32 v1, s1
	v_add_co_u32_e32 v34, vcc, s0, v0
	v_addc_co_u32_e32 v35, vcc, 0, v1, vcc
	global_store_dwordx2 v0, v[4:5], s[0:1]
	global_store_dwordx2 v0, v[2:3], s[0:1] offset:2048
	v_add_co_u32_e32 v0, vcc, 0x1000, v34
	v_addc_co_u32_e32 v1, vcc, 0, v35, vcc
	global_store_dwordx2 v[0:1], v[26:27], off
	global_store_dwordx2 v[0:1], v[32:33], off offset:2048
	v_add_co_u32_e32 v0, vcc, 0x2000, v34
	v_addc_co_u32_e32 v1, vcc, 0, v35, vcc
	global_store_dwordx2 v[0:1], v[18:19], off
	global_store_dwordx2 v[0:1], v[16:17], off offset:2048
	;; [unrolled: 4-line block ×7, first 2 shown]
	s_endpgm
	.section	.rodata,"a",@progbits
	.p2align	6, 0x0
	.amdhsa_kernel _Z6kernelI26subtract_left_partial_tileLj256ELj16ELb1EJPxPiS1_jEEvDpT3_
		.amdhsa_group_segment_fixed_size 4096
		.amdhsa_private_segment_fixed_size 0
		.amdhsa_kernarg_size 28
		.amdhsa_user_sgpr_count 6
		.amdhsa_user_sgpr_private_segment_buffer 1
		.amdhsa_user_sgpr_dispatch_ptr 0
		.amdhsa_user_sgpr_queue_ptr 0
		.amdhsa_user_sgpr_kernarg_segment_ptr 1
		.amdhsa_user_sgpr_dispatch_id 0
		.amdhsa_user_sgpr_flat_scratch_init 0
		.amdhsa_user_sgpr_kernarg_preload_length 0
		.amdhsa_user_sgpr_kernarg_preload_offset 0
		.amdhsa_user_sgpr_private_segment_size 0
		.amdhsa_uses_dynamic_stack 0
		.amdhsa_system_sgpr_private_segment_wavefront_offset 0
		.amdhsa_system_sgpr_workgroup_id_x 1
		.amdhsa_system_sgpr_workgroup_id_y 0
		.amdhsa_system_sgpr_workgroup_id_z 0
		.amdhsa_system_sgpr_workgroup_info 0
		.amdhsa_system_vgpr_workitem_id 0
		.amdhsa_next_free_vgpr 63
		.amdhsa_next_free_sgpr 14
		.amdhsa_accum_offset 64
		.amdhsa_reserve_vcc 1
		.amdhsa_reserve_flat_scratch 0
		.amdhsa_float_round_mode_32 0
		.amdhsa_float_round_mode_16_64 0
		.amdhsa_float_denorm_mode_32 3
		.amdhsa_float_denorm_mode_16_64 3
		.amdhsa_dx10_clamp 1
		.amdhsa_ieee_mode 1
		.amdhsa_fp16_overflow 0
		.amdhsa_tg_split 0
		.amdhsa_exception_fp_ieee_invalid_op 0
		.amdhsa_exception_fp_denorm_src 0
		.amdhsa_exception_fp_ieee_div_zero 0
		.amdhsa_exception_fp_ieee_overflow 0
		.amdhsa_exception_fp_ieee_underflow 0
		.amdhsa_exception_fp_ieee_inexact 0
		.amdhsa_exception_int_div_zero 0
	.end_amdhsa_kernel
	.section	.text._Z6kernelI26subtract_left_partial_tileLj256ELj16ELb1EJPxPiS1_jEEvDpT3_,"axG",@progbits,_Z6kernelI26subtract_left_partial_tileLj256ELj16ELb1EJPxPiS1_jEEvDpT3_,comdat
.Lfunc_end172:
	.size	_Z6kernelI26subtract_left_partial_tileLj256ELj16ELb1EJPxPiS1_jEEvDpT3_, .Lfunc_end172-_Z6kernelI26subtract_left_partial_tileLj256ELj16ELb1EJPxPiS1_jEEvDpT3_
                                        ; -- End function
	.section	.AMDGPU.csdata,"",@progbits
; Kernel info:
; codeLenInByte = 1700
; NumSgprs: 18
; NumVgprs: 63
; NumAgprs: 0
; TotalNumVgprs: 63
; ScratchSize: 0
; MemoryBound: 0
; FloatMode: 240
; IeeeMode: 1
; LDSByteSize: 4096 bytes/workgroup (compile time only)
; SGPRBlocks: 2
; VGPRBlocks: 7
; NumSGPRsForWavesPerEU: 18
; NumVGPRsForWavesPerEU: 63
; AccumOffset: 64
; Occupancy: 8
; WaveLimiterHint : 1
; COMPUTE_PGM_RSRC2:SCRATCH_EN: 0
; COMPUTE_PGM_RSRC2:USER_SGPR: 6
; COMPUTE_PGM_RSRC2:TRAP_HANDLER: 0
; COMPUTE_PGM_RSRC2:TGID_X_EN: 1
; COMPUTE_PGM_RSRC2:TGID_Y_EN: 0
; COMPUTE_PGM_RSRC2:TGID_Z_EN: 0
; COMPUTE_PGM_RSRC2:TIDIG_COMP_CNT: 0
; COMPUTE_PGM_RSRC3_GFX90A:ACCUM_OFFSET: 15
; COMPUTE_PGM_RSRC3_GFX90A:TG_SPLIT: 0
	.section	.text._Z6kernelI26subtract_left_partial_tileLj256ELj32ELb1EJPxPiS1_jEEvDpT3_,"axG",@progbits,_Z6kernelI26subtract_left_partial_tileLj256ELj32ELb1EJPxPiS1_jEEvDpT3_,comdat
	.protected	_Z6kernelI26subtract_left_partial_tileLj256ELj32ELb1EJPxPiS1_jEEvDpT3_ ; -- Begin function _Z6kernelI26subtract_left_partial_tileLj256ELj32ELb1EJPxPiS1_jEEvDpT3_
	.globl	_Z6kernelI26subtract_left_partial_tileLj256ELj32ELb1EJPxPiS1_jEEvDpT3_
	.p2align	8
	.type	_Z6kernelI26subtract_left_partial_tileLj256ELj32ELb1EJPxPiS1_jEEvDpT3_,@function
_Z6kernelI26subtract_left_partial_tileLj256ELj32ELb1EJPxPiS1_jEEvDpT3_: ; @_Z6kernelI26subtract_left_partial_tileLj256ELj32ELb1EJPxPiS1_jEEvDpT3_
; %bb.0:
	s_load_dwordx4 s[0:3], s[4:5], 0x0
	s_load_dwordx2 s[8:9], s[4:5], 0x10
	s_lshl_b32 s12, s6, 13
	s_mov_b32 s13, 0
	s_lshl_b64 s[10:11], s[12:13], 3
	s_waitcnt lgkmcnt(0)
	s_add_u32 s0, s0, s10
	s_addc_u32 s1, s1, s11
	v_lshlrev_b32_e32 v1, 3, v0
	v_mov_b32_e32 v2, s1
	v_add_co_u32_e32 v46, vcc, s0, v1
	v_addc_co_u32_e32 v47, vcc, 0, v2, vcc
	s_movk_i32 s7, 0x1000
	v_add_co_u32_e32 v30, vcc, s7, v46
	v_addc_co_u32_e32 v31, vcc, 0, v47, vcc
	s_movk_i32 s7, 0x2000
	;; [unrolled: 3-line block ×7, first 2 shown]
	v_add_co_u32_e32 v42, vcc, s7, v46
	v_addc_co_u32_e32 v43, vcc, 0, v47, vcc
	s_mov_b32 s7, 0x8000
	v_add_co_u32_e32 v44, vcc, s7, v46
	v_addc_co_u32_e32 v45, vcc, 0, v47, vcc
	s_mov_b32 s7, 0x9000
	;; [unrolled: 3-line block ×3, first 2 shown]
	global_load_dwordx2 v[22:23], v[2:3], off offset:-4096
	global_load_dwordx2 v[10:11], v[2:3], off
	global_load_dwordx2 v[8:9], v[2:3], off offset:2048
	global_load_dwordx2 v[4:5], v[12:13], off offset:-4096
	global_load_dwordx2 v[18:19], v[12:13], off
	global_load_dwordx2 v[16:17], v[12:13], off offset:2048
	global_load_dwordx2 v[6:7], v[36:37], off offset:-4096
	s_nop 0
	global_load_dwordx2 v[2:3], v[36:37], off
	global_load_dwordx2 v[40:41], v[30:31], off offset:2048
	global_load_dwordx2 v[38:39], v[32:33], off offset:2048
	;; [unrolled: 1-line block ×5, first 2 shown]
	global_load_dwordx2 v[24:25], v[44:45], off offset:-4096
	global_load_dwordx2 v[14:15], v[44:45], off
	global_load_dwordx2 v[12:13], v[44:45], off offset:2048
	v_add_co_u32_e32 v42, vcc, s7, v46
	v_addc_co_u32_e32 v43, vcc, 0, v47, vcc
	s_mov_b32 s7, 0xb000
	v_add_co_u32_e32 v68, vcc, s7, v46
	v_addc_co_u32_e32 v69, vcc, 0, v47, vcc
	s_mov_b32 s7, 0xc000
	;; [unrolled: 3-line block ×5, first 2 shown]
	v_add_co_u32_e32 v76, vcc, s7, v46
	global_load_dwordx2 v[36:37], v[42:43], off offset:-4096
	global_load_dwordx2 v[34:35], v[42:43], off
	global_load_dwordx2 v[32:33], v[42:43], off offset:2048
	global_load_dwordx2 v[30:31], v[70:71], off offset:-4096
	v_addc_co_u32_e32 v77, vcc, 0, v47, vcc
	global_load_dwordx2 v[56:57], v[70:71], off
	global_load_dwordx2 v[54:55], v[70:71], off offset:2048
	global_load_dwordx2 v[50:51], v[74:75], off offset:-4096
	global_load_dwordx2 v[48:49], v[74:75], off
	global_load_dwordx2 v[46:47], v[74:75], off offset:2048
	global_load_dwordx2 v[60:61], v[66:67], off offset:2048
	;; [unrolled: 1-line block ×4, first 2 shown]
	global_load_dwordx2 v[42:43], v[76:77], off
	global_load_dwordx2 v[44:45], v[76:77], off offset:2048
	global_load_dwordx2 v[64:65], v1, s[0:1]
	global_load_dwordx2 v[62:63], v1, s[0:1] offset:2048
	s_load_dword s12, s[4:5], 0x18
	s_mov_b32 s7, s13
	s_lshl_b64 s[0:1], s[6:7], 2
	s_add_u32 s0, s2, s0
	s_addc_u32 s1, s3, s1
	s_waitcnt lgkmcnt(0)
	v_cvt_f32_u32_e32 v66, s12
	s_load_dword s4, s[0:1], 0x0
	s_sub_i32 s0, 0, s12
	v_lshlrev_b32_e32 v68, 5, v0
	v_rcp_iflag_f32_e32 v66, v66
	v_cmp_ne_u32_e32 vcc, 0, v0
	v_or_b32_e32 v69, 31, v68
	v_or_b32_e32 v70, 30, v68
	v_mul_f32_e32 v66, 0x4f7ffffe, v66
	v_cvt_u32_f32_e32 v66, v66
	v_or_b32_e32 v71, 29, v68
	v_or_b32_e32 v72, 28, v68
	;; [unrolled: 1-line block ×3, first 2 shown]
	v_readfirstlane_b32 s5, v66
	s_mul_i32 s0, s0, s5
	s_mul_hi_u32 s0, s5, s0
	s_add_i32 s5, s5, s0
	s_lshr_b32 s0, s5, 19
	s_mul_i32 s1, s0, s12
	s_sub_i32 s1, 0x2000, s1
	s_add_i32 s2, s0, 1
	s_sub_i32 s3, s1, s12
	s_cmp_ge_u32 s1, s12
	s_cselect_b32 s0, s2, s0
	s_cselect_b32 s1, s3, s1
	s_add_i32 s2, s0, 1
	s_cmp_ge_u32 s1, s12
	s_cselect_b32 s5, s2, s0
	s_add_i32 s5, s5, 1
	s_max_u32 s6, s12, 1
	v_or_b32_e32 v74, 26, v68
	v_or_b32_e32 v75, 25, v68
	;; [unrolled: 1-line block ×26, first 2 shown]
	v_add_u32_e32 v100, -8, v1
	s_branch .LBB173_2
.LBB173_1:                              ;   in Loop: Header=BB173_2 Depth=1
	s_or_b64 exec, exec, s[0:1]
	v_cmp_gt_u32_e64 s[0:1], s4, v69
	v_cndmask_b32_e64 v102, 0, v42, s[0:1]
	v_cndmask_b32_e64 v101, 0, v43, s[0:1]
	v_sub_co_u32_e64 v102, s[0:1], v44, v102
	v_subb_co_u32_e64 v101, s[0:1], v45, v101, s[0:1]
	v_cmp_gt_u32_e64 s[0:1], s4, v70
	v_cndmask_b32_e64 v104, 0, v46, s[0:1]
	v_cndmask_b32_e64 v103, 0, v47, s[0:1]
	v_sub_co_u32_e64 v104, s[0:1], v42, v104
	v_subb_co_u32_e64 v103, s[0:1], v43, v103, s[0:1]
	;; [unrolled: 5-line block ×12, first 2 shown]
	v_cmp_gt_u32_e64 s[2:3], s4, v68
	v_cmp_gt_u32_e64 s[0:1], s4, v99
	s_waitcnt lgkmcnt(0)
	v_cndmask_b32_e64 v66, 0, v66, s[2:3]
	s_waitcnt vmcnt(1)
	v_cndmask_b32_e64 v125, 0, v65, s[0:1]
	v_cndmask_b32_e64 v67, 0, v67, s[2:3]
	;; [unrolled: 1-line block ×3, first 2 shown]
	v_sub_co_u32_e64 v66, s[0:1], v64, v66
	v_subb_co_u32_e64 v67, s[0:1], v65, v67, s[0:1]
	v_add_co_u32_e64 v64, s[0:1], v66, v64
	v_addc_co_u32_e64 v65, s[0:1], v67, v65, s[0:1]
	s_waitcnt vmcnt(0)
	v_sub_co_u32_e64 v126, s[0:1], v62, v126
	v_cmp_gt_u32_e64 s[2:3], s4, v98
	v_subb_co_u32_e64 v125, s[0:1], v63, v125, s[0:1]
	v_cndmask_b32_e64 v67, 0, v62, s[2:3]
	v_add_co_u32_e64 v62, s[0:1], v126, v62
	v_cndmask_b32_e64 v66, 0, v63, s[2:3]
	v_addc_co_u32_e64 v63, s[0:1], v125, v63, s[0:1]
	v_sub_co_u32_e64 v67, s[0:1], v22, v67
	v_cmp_gt_u32_e64 s[2:3], s4, v97
	v_subb_co_u32_e64 v66, s[0:1], v23, v66, s[0:1]
	v_cndmask_b32_e64 v125, 0, v22, s[2:3]
	v_add_co_u32_e64 v22, s[0:1], v67, v22
	v_cndmask_b32_e64 v126, 0, v23, s[2:3]
	v_addc_co_u32_e64 v23, s[0:1], v66, v23, s[0:1]
	;; [unrolled: 7-line block ×16, first 2 shown]
	v_sub_co_u32_e64 v126, s[0:1], v12, v126
	v_cmp_gt_u32_e64 s[2:3], s4, v82
	v_subb_co_u32_e64 v125, s[0:1], v13, v125, s[0:1]
	v_cndmask_b32_e64 v66, 0, v13, s[2:3]
	v_cndmask_b32_e64 v67, 0, v12, s[2:3]
	v_add_co_u32_e64 v12, s[0:1], v126, v12
	v_cmp_gt_u32_e64 s[2:3], s4, v81
	v_addc_co_u32_e64 v13, s[0:1], v125, v13, s[0:1]
	v_cndmask_b32_e64 v125, 0, v36, s[2:3]
	v_cndmask_b32_e64 v126, 0, v37, s[2:3]
	v_sub_co_u32_e64 v125, s[0:1], v60, v125
	v_subb_co_u32_e64 v126, s[0:1], v61, v126, s[0:1]
	v_sub_co_u32_e64 v67, s[0:1], v36, v67
	v_subb_co_u32_e64 v66, s[0:1], v37, v66, s[0:1]
	v_add_co_u32_e64 v36, s[0:1], v67, v36
	v_addc_co_u32_e64 v37, s[0:1], v66, v37, s[0:1]
	v_add_co_u32_e64 v60, s[0:1], v125, v60
	v_addc_co_u32_e64 v61, s[0:1], v126, v61, s[0:1]
	;; [unrolled: 2-line block ×14, first 2 shown]
	s_add_i32 s0, s5, s4
	s_and_b32 s4, s0, 0x1fff
	s_add_i32 s6, s6, -1
	s_cmp_lg_u32 s6, 0
	s_barrier
	s_cbranch_scc0 .LBB173_4
.LBB173_2:                              ; =>This Inner Loop Header: Depth=1
	v_mov_b32_e32 v66, 0x7b
	v_mov_b32_e32 v67, 0
	s_waitcnt vmcnt(2)
	ds_write_b64 v1, v[44:45]
	s_waitcnt lgkmcnt(0)
	s_barrier
	s_and_saveexec_b64 s[0:1], vcc
	s_cbranch_execz .LBB173_1
; %bb.3:                                ;   in Loop: Header=BB173_2 Depth=1
	ds_read_b64 v[66:67], v100
	s_branch .LBB173_1
.LBB173_4:
	s_add_u32 s0, s8, s10
	s_addc_u32 s1, s9, s11
	v_lshlrev_b32_e32 v0, 3, v0
	v_mov_b32_e32 v1, s1
	v_add_co_u32_e32 v66, vcc, s0, v0
	v_addc_co_u32_e32 v67, vcc, 0, v1, vcc
	global_store_dwordx2 v0, v[64:65], s[0:1]
	global_store_dwordx2 v0, v[62:63], s[0:1] offset:2048
	v_add_co_u32_e32 v0, vcc, 0x1000, v66
	v_addc_co_u32_e32 v1, vcc, 0, v67, vcc
	global_store_dwordx2 v[0:1], v[22:23], off
	global_store_dwordx2 v[0:1], v[40:41], off offset:2048
	v_add_co_u32_e32 v0, vcc, 0x2000, v66
	v_addc_co_u32_e32 v1, vcc, 0, v67, vcc
	global_store_dwordx2 v[0:1], v[10:11], off
	global_store_dwordx2 v[0:1], v[8:9], off offset:2048
	;; [unrolled: 4-line block ×15, first 2 shown]
	s_endpgm
	.section	.rodata,"a",@progbits
	.p2align	6, 0x0
	.amdhsa_kernel _Z6kernelI26subtract_left_partial_tileLj256ELj32ELb1EJPxPiS1_jEEvDpT3_
		.amdhsa_group_segment_fixed_size 4096
		.amdhsa_private_segment_fixed_size 0
		.amdhsa_kernarg_size 28
		.amdhsa_user_sgpr_count 6
		.amdhsa_user_sgpr_private_segment_buffer 1
		.amdhsa_user_sgpr_dispatch_ptr 0
		.amdhsa_user_sgpr_queue_ptr 0
		.amdhsa_user_sgpr_kernarg_segment_ptr 1
		.amdhsa_user_sgpr_dispatch_id 0
		.amdhsa_user_sgpr_flat_scratch_init 0
		.amdhsa_user_sgpr_kernarg_preload_length 0
		.amdhsa_user_sgpr_kernarg_preload_offset 0
		.amdhsa_user_sgpr_private_segment_size 0
		.amdhsa_uses_dynamic_stack 0
		.amdhsa_system_sgpr_private_segment_wavefront_offset 0
		.amdhsa_system_sgpr_workgroup_id_x 1
		.amdhsa_system_sgpr_workgroup_id_y 0
		.amdhsa_system_sgpr_workgroup_id_z 0
		.amdhsa_system_sgpr_workgroup_info 0
		.amdhsa_system_vgpr_workitem_id 0
		.amdhsa_next_free_vgpr 127
		.amdhsa_next_free_sgpr 14
		.amdhsa_accum_offset 128
		.amdhsa_reserve_vcc 1
		.amdhsa_reserve_flat_scratch 0
		.amdhsa_float_round_mode_32 0
		.amdhsa_float_round_mode_16_64 0
		.amdhsa_float_denorm_mode_32 3
		.amdhsa_float_denorm_mode_16_64 3
		.amdhsa_dx10_clamp 1
		.amdhsa_ieee_mode 1
		.amdhsa_fp16_overflow 0
		.amdhsa_tg_split 0
		.amdhsa_exception_fp_ieee_invalid_op 0
		.amdhsa_exception_fp_denorm_src 0
		.amdhsa_exception_fp_ieee_div_zero 0
		.amdhsa_exception_fp_ieee_overflow 0
		.amdhsa_exception_fp_ieee_underflow 0
		.amdhsa_exception_fp_ieee_inexact 0
		.amdhsa_exception_int_div_zero 0
	.end_amdhsa_kernel
	.section	.text._Z6kernelI26subtract_left_partial_tileLj256ELj32ELb1EJPxPiS1_jEEvDpT3_,"axG",@progbits,_Z6kernelI26subtract_left_partial_tileLj256ELj32ELb1EJPxPiS1_jEEvDpT3_,comdat
.Lfunc_end173:
	.size	_Z6kernelI26subtract_left_partial_tileLj256ELj32ELb1EJPxPiS1_jEEvDpT3_, .Lfunc_end173-_Z6kernelI26subtract_left_partial_tileLj256ELj32ELb1EJPxPiS1_jEEvDpT3_
                                        ; -- End function
	.section	.AMDGPU.csdata,"",@progbits
; Kernel info:
; codeLenInByte = 3152
; NumSgprs: 18
; NumVgprs: 127
; NumAgprs: 0
; TotalNumVgprs: 127
; ScratchSize: 0
; MemoryBound: 0
; FloatMode: 240
; IeeeMode: 1
; LDSByteSize: 4096 bytes/workgroup (compile time only)
; SGPRBlocks: 2
; VGPRBlocks: 15
; NumSGPRsForWavesPerEU: 18
; NumVGPRsForWavesPerEU: 127
; AccumOffset: 128
; Occupancy: 4
; WaveLimiterHint : 1
; COMPUTE_PGM_RSRC2:SCRATCH_EN: 0
; COMPUTE_PGM_RSRC2:USER_SGPR: 6
; COMPUTE_PGM_RSRC2:TRAP_HANDLER: 0
; COMPUTE_PGM_RSRC2:TGID_X_EN: 1
; COMPUTE_PGM_RSRC2:TGID_Y_EN: 0
; COMPUTE_PGM_RSRC2:TGID_Z_EN: 0
; COMPUTE_PGM_RSRC2:TIDIG_COMP_CNT: 0
; COMPUTE_PGM_RSRC3_GFX90A:ACCUM_OFFSET: 31
; COMPUTE_PGM_RSRC3_GFX90A:TG_SPLIT: 0
	.section	.text._Z6kernelI26subtract_left_partial_tileLj256ELj1ELb1EJPdPiS1_jEEvDpT3_,"axG",@progbits,_Z6kernelI26subtract_left_partial_tileLj256ELj1ELb1EJPdPiS1_jEEvDpT3_,comdat
	.protected	_Z6kernelI26subtract_left_partial_tileLj256ELj1ELb1EJPdPiS1_jEEvDpT3_ ; -- Begin function _Z6kernelI26subtract_left_partial_tileLj256ELj1ELb1EJPdPiS1_jEEvDpT3_
	.globl	_Z6kernelI26subtract_left_partial_tileLj256ELj1ELb1EJPdPiS1_jEEvDpT3_
	.p2align	8
	.type	_Z6kernelI26subtract_left_partial_tileLj256ELj1ELb1EJPdPiS1_jEEvDpT3_,@function
_Z6kernelI26subtract_left_partial_tileLj256ELj1ELb1EJPdPiS1_jEEvDpT3_: ; @_Z6kernelI26subtract_left_partial_tileLj256ELj1ELb1EJPdPiS1_jEEvDpT3_
; %bb.0:
	s_load_dwordx4 s[12:15], s[4:5], 0x0
	s_load_dwordx2 s[2:3], s[4:5], 0x10
	s_lshl_b32 s0, s6, 8
	s_mov_b32 s1, 0
	s_lshl_b64 s[8:9], s[0:1], 3
	s_waitcnt lgkmcnt(0)
	s_add_u32 s10, s12, s8
	s_addc_u32 s11, s13, s9
	v_lshlrev_b32_e32 v1, 3, v0
	global_load_dwordx2 v[2:3], v1, s[10:11]
	s_load_dword s10, s[4:5], 0x18
	s_mov_b32 s7, s1
	s_lshl_b64 s[0:1], s[6:7], 2
	s_add_u32 s0, s14, s0
	s_addc_u32 s1, s15, s1
	s_waitcnt lgkmcnt(0)
	v_cvt_f32_u32_e32 v4, s10
	s_load_dword s4, s[0:1], 0x0
	s_sub_i32 s0, 0, s10
	v_cmp_ne_u32_e32 vcc, 0, v0
	v_rcp_iflag_f32_e32 v4, v4
	v_add_u32_e32 v6, -8, v1
	v_mul_f32_e32 v4, 0x4f7ffffe, v4
	v_cvt_u32_f32_e32 v4, v4
	v_readfirstlane_b32 s1, v4
	s_mul_i32 s0, s0, s1
	s_mul_hi_u32 s0, s1, s0
	s_add_i32 s1, s1, s0
	s_lshr_b32 s0, s1, 24
	s_mul_i32 s1, s0, s10
	s_sub_i32 s1, 0x100, s1
	s_add_i32 s5, s0, 1
	s_sub_i32 s6, s1, s10
	s_cmp_ge_u32 s1, s10
	s_cselect_b32 s0, s5, s0
	s_cselect_b32 s1, s6, s1
	s_add_i32 s5, s0, 1
	s_cmp_ge_u32 s1, s10
	s_cselect_b32 s5, s5, s0
	s_add_i32 s5, s5, 1
	s_max_u32 s6, s10, 1
	s_branch .LBB174_2
.LBB174_1:                              ;   in Loop: Header=BB174_2 Depth=1
	s_or_b64 exec, exec, s[0:1]
	s_waitcnt lgkmcnt(0)
	v_add_f64 v[4:5], v[2:3], -v[4:5]
	v_cmp_gt_u32_e64 s[0:1], s4, v0
	v_cndmask_b32_e64 v5, v3, v5, s[0:1]
	v_cndmask_b32_e64 v4, v2, v4, s[0:1]
	s_add_i32 s0, s5, s4
	s_and_b32 s4, s0, 0xff
	s_add_i32 s6, s6, -1
	v_add_f64 v[2:3], v[2:3], v[4:5]
	s_cmp_lg_u32 s6, 0
	s_barrier
	s_cbranch_scc0 .LBB174_4
.LBB174_2:                              ; =>This Inner Loop Header: Depth=1
	v_mov_b32_e32 v4, 0
	v_mov_b32_e32 v5, 0x405ec000
	s_waitcnt vmcnt(0)
	ds_write_b64 v1, v[2:3]
	s_waitcnt lgkmcnt(0)
	s_barrier
	s_and_saveexec_b64 s[0:1], vcc
	s_cbranch_execz .LBB174_1
; %bb.3:                                ;   in Loop: Header=BB174_2 Depth=1
	ds_read_b64 v[4:5], v6
	s_branch .LBB174_1
.LBB174_4:
	s_add_u32 s0, s2, s8
	s_addc_u32 s1, s3, s9
	v_lshlrev_b32_e32 v0, 3, v0
	global_store_dwordx2 v0, v[2:3], s[0:1]
	s_endpgm
	.section	.rodata,"a",@progbits
	.p2align	6, 0x0
	.amdhsa_kernel _Z6kernelI26subtract_left_partial_tileLj256ELj1ELb1EJPdPiS1_jEEvDpT3_
		.amdhsa_group_segment_fixed_size 4096
		.amdhsa_private_segment_fixed_size 0
		.amdhsa_kernarg_size 28
		.amdhsa_user_sgpr_count 6
		.amdhsa_user_sgpr_private_segment_buffer 1
		.amdhsa_user_sgpr_dispatch_ptr 0
		.amdhsa_user_sgpr_queue_ptr 0
		.amdhsa_user_sgpr_kernarg_segment_ptr 1
		.amdhsa_user_sgpr_dispatch_id 0
		.amdhsa_user_sgpr_flat_scratch_init 0
		.amdhsa_user_sgpr_kernarg_preload_length 0
		.amdhsa_user_sgpr_kernarg_preload_offset 0
		.amdhsa_user_sgpr_private_segment_size 0
		.amdhsa_uses_dynamic_stack 0
		.amdhsa_system_sgpr_private_segment_wavefront_offset 0
		.amdhsa_system_sgpr_workgroup_id_x 1
		.amdhsa_system_sgpr_workgroup_id_y 0
		.amdhsa_system_sgpr_workgroup_id_z 0
		.amdhsa_system_sgpr_workgroup_info 0
		.amdhsa_system_vgpr_workitem_id 0
		.amdhsa_next_free_vgpr 7
		.amdhsa_next_free_sgpr 16
		.amdhsa_accum_offset 8
		.amdhsa_reserve_vcc 1
		.amdhsa_reserve_flat_scratch 0
		.amdhsa_float_round_mode_32 0
		.amdhsa_float_round_mode_16_64 0
		.amdhsa_float_denorm_mode_32 3
		.amdhsa_float_denorm_mode_16_64 3
		.amdhsa_dx10_clamp 1
		.amdhsa_ieee_mode 1
		.amdhsa_fp16_overflow 0
		.amdhsa_tg_split 0
		.amdhsa_exception_fp_ieee_invalid_op 0
		.amdhsa_exception_fp_denorm_src 0
		.amdhsa_exception_fp_ieee_div_zero 0
		.amdhsa_exception_fp_ieee_overflow 0
		.amdhsa_exception_fp_ieee_underflow 0
		.amdhsa_exception_fp_ieee_inexact 0
		.amdhsa_exception_int_div_zero 0
	.end_amdhsa_kernel
	.section	.text._Z6kernelI26subtract_left_partial_tileLj256ELj1ELb1EJPdPiS1_jEEvDpT3_,"axG",@progbits,_Z6kernelI26subtract_left_partial_tileLj256ELj1ELb1EJPdPiS1_jEEvDpT3_,comdat
.Lfunc_end174:
	.size	_Z6kernelI26subtract_left_partial_tileLj256ELj1ELb1EJPdPiS1_jEEvDpT3_, .Lfunc_end174-_Z6kernelI26subtract_left_partial_tileLj256ELj1ELb1EJPdPiS1_jEEvDpT3_
                                        ; -- End function
	.section	.AMDGPU.csdata,"",@progbits
; Kernel info:
; codeLenInByte = 348
; NumSgprs: 20
; NumVgprs: 7
; NumAgprs: 0
; TotalNumVgprs: 7
; ScratchSize: 0
; MemoryBound: 0
; FloatMode: 240
; IeeeMode: 1
; LDSByteSize: 4096 bytes/workgroup (compile time only)
; SGPRBlocks: 2
; VGPRBlocks: 0
; NumSGPRsForWavesPerEU: 20
; NumVGPRsForWavesPerEU: 7
; AccumOffset: 8
; Occupancy: 8
; WaveLimiterHint : 0
; COMPUTE_PGM_RSRC2:SCRATCH_EN: 0
; COMPUTE_PGM_RSRC2:USER_SGPR: 6
; COMPUTE_PGM_RSRC2:TRAP_HANDLER: 0
; COMPUTE_PGM_RSRC2:TGID_X_EN: 1
; COMPUTE_PGM_RSRC2:TGID_Y_EN: 0
; COMPUTE_PGM_RSRC2:TGID_Z_EN: 0
; COMPUTE_PGM_RSRC2:TIDIG_COMP_CNT: 0
; COMPUTE_PGM_RSRC3_GFX90A:ACCUM_OFFSET: 1
; COMPUTE_PGM_RSRC3_GFX90A:TG_SPLIT: 0
	.section	.text._Z6kernelI26subtract_left_partial_tileLj256ELj3ELb1EJPdPiS1_jEEvDpT3_,"axG",@progbits,_Z6kernelI26subtract_left_partial_tileLj256ELj3ELb1EJPdPiS1_jEEvDpT3_,comdat
	.protected	_Z6kernelI26subtract_left_partial_tileLj256ELj3ELb1EJPdPiS1_jEEvDpT3_ ; -- Begin function _Z6kernelI26subtract_left_partial_tileLj256ELj3ELb1EJPdPiS1_jEEvDpT3_
	.globl	_Z6kernelI26subtract_left_partial_tileLj256ELj3ELb1EJPdPiS1_jEEvDpT3_
	.p2align	8
	.type	_Z6kernelI26subtract_left_partial_tileLj256ELj3ELb1EJPdPiS1_jEEvDpT3_,@function
_Z6kernelI26subtract_left_partial_tileLj256ELj3ELb1EJPdPiS1_jEEvDpT3_: ; @_Z6kernelI26subtract_left_partial_tileLj256ELj3ELb1EJPdPiS1_jEEvDpT3_
; %bb.0:
	s_load_dwordx4 s[0:3], s[4:5], 0x0
	s_load_dwordx2 s[8:9], s[4:5], 0x10
	s_mul_i32 s12, s6, 0x300
	s_mov_b32 s13, 0
	s_lshl_b64 s[10:11], s[12:13], 3
	s_waitcnt lgkmcnt(0)
	s_add_u32 s0, s0, s10
	s_addc_u32 s1, s1, s11
	v_lshlrev_b32_e32 v1, 3, v0
	v_mov_b32_e32 v2, s1
	v_add_co_u32_e32 v6, vcc, s0, v1
	v_addc_co_u32_e32 v7, vcc, 0, v2, vcc
	global_load_dwordx2 v[2:3], v1, s[0:1]
	global_load_dwordx2 v[4:5], v1, s[0:1] offset:2048
	s_movk_i32 s0, 0x1000
	v_add_co_u32_e32 v6, vcc, s0, v6
	v_addc_co_u32_e32 v7, vcc, 0, v7, vcc
	global_load_dwordx2 v[6:7], v[6:7], off
	s_load_dword s4, s[4:5], 0x18
	s_mov_b32 s7, s13
	s_lshl_b64 s[0:1], s[6:7], 2
	s_add_u32 s0, s2, s0
	s_addc_u32 s1, s3, s1
	s_waitcnt lgkmcnt(0)
	v_cvt_f32_u32_e32 v8, s4
	s_load_dword s2, s[0:1], 0x0
	s_sub_i32 s0, 0, s4
	v_mul_u32_u24_e32 v10, 3, v0
	v_rcp_iflag_f32_e32 v8, v8
	v_mad_u32_u24 v11, v0, 3, 2
	v_mad_u32_u24 v12, v0, 3, 1
	v_cmp_ne_u32_e32 vcc, 0, v0
	v_mul_f32_e32 v8, 0x4f7ffffe, v8
	v_cvt_u32_f32_e32 v8, v8
	v_add_u32_e32 v13, -8, v1
	v_readfirstlane_b32 s1, v8
	s_mul_i32 s0, s0, s1
	s_mul_hi_u32 s0, s1, s0
	s_add_i32 s1, s1, s0
	s_mul_hi_u32 s0, s1, 0x300
	s_mul_i32 s1, s0, s4
	s_sub_i32 s1, 0x300, s1
	s_add_i32 s3, s0, 1
	s_sub_i32 s5, s1, s4
	s_cmp_ge_u32 s1, s4
	s_cselect_b32 s0, s3, s0
	s_cselect_b32 s1, s5, s1
	s_add_i32 s3, s0, 1
	s_cmp_ge_u32 s1, s4
	s_cselect_b32 s3, s3, s0
	s_add_i32 s3, s3, 1
	s_max_u32 s4, s4, 1
	s_branch .LBB175_2
.LBB175_1:                              ;   in Loop: Header=BB175_2 Depth=1
	s_or_b64 exec, exec, s[0:1]
	v_add_f64 v[14:15], v[6:7], -v[4:5]
	v_cmp_gt_u32_e64 s[0:1], s2, v11
	v_cndmask_b32_e64 v15, v7, v15, s[0:1]
	v_cndmask_b32_e64 v14, v6, v14, s[0:1]
	v_add_f64 v[16:17], v[4:5], -v[2:3]
	v_cmp_gt_u32_e64 s[0:1], s2, v12
	v_cndmask_b32_e64 v17, v5, v17, s[0:1]
	v_cndmask_b32_e64 v16, v4, v16, s[0:1]
	s_waitcnt lgkmcnt(0)
	v_add_f64 v[8:9], v[2:3], -v[8:9]
	v_cmp_gt_u32_e64 s[0:1], s2, v10
	v_cndmask_b32_e64 v9, v3, v9, s[0:1]
	v_cndmask_b32_e64 v8, v2, v8, s[0:1]
	s_add_i32 s0, s3, s2
	s_mul_hi_u32 s1, s0, 0xaaaaaaab
	s_lshr_b32 s1, s1, 9
	s_mulk_i32 s1, 0x300
	s_sub_i32 s2, s0, s1
	s_add_i32 s4, s4, -1
	v_add_f64 v[2:3], v[2:3], v[8:9]
	v_add_f64 v[4:5], v[4:5], v[16:17]
	;; [unrolled: 1-line block ×3, first 2 shown]
	s_cmp_lg_u32 s4, 0
	s_barrier
	s_cbranch_scc0 .LBB175_4
.LBB175_2:                              ; =>This Inner Loop Header: Depth=1
	v_mov_b32_e32 v8, 0
	v_mov_b32_e32 v9, 0x405ec000
	s_waitcnt vmcnt(0)
	ds_write_b64 v1, v[6:7]
	s_waitcnt lgkmcnt(0)
	s_barrier
	s_and_saveexec_b64 s[0:1], vcc
	s_cbranch_execz .LBB175_1
; %bb.3:                                ;   in Loop: Header=BB175_2 Depth=1
	ds_read_b64 v[8:9], v13
	s_branch .LBB175_1
.LBB175_4:
	s_add_u32 s0, s8, s10
	s_addc_u32 s1, s9, s11
	v_lshlrev_b32_e32 v0, 3, v0
	v_mov_b32_e32 v1, s1
	v_add_co_u32_e32 v8, vcc, s0, v0
	v_addc_co_u32_e32 v1, vcc, 0, v1, vcc
	global_store_dwordx2 v0, v[2:3], s[0:1]
	global_store_dwordx2 v0, v[4:5], s[0:1] offset:2048
	v_add_co_u32_e32 v0, vcc, 0x1000, v8
	v_addc_co_u32_e32 v1, vcc, 0, v1, vcc
	global_store_dwordx2 v[0:1], v[6:7], off
	s_endpgm
	.section	.rodata,"a",@progbits
	.p2align	6, 0x0
	.amdhsa_kernel _Z6kernelI26subtract_left_partial_tileLj256ELj3ELb1EJPdPiS1_jEEvDpT3_
		.amdhsa_group_segment_fixed_size 4096
		.amdhsa_private_segment_fixed_size 0
		.amdhsa_kernarg_size 28
		.amdhsa_user_sgpr_count 6
		.amdhsa_user_sgpr_private_segment_buffer 1
		.amdhsa_user_sgpr_dispatch_ptr 0
		.amdhsa_user_sgpr_queue_ptr 0
		.amdhsa_user_sgpr_kernarg_segment_ptr 1
		.amdhsa_user_sgpr_dispatch_id 0
		.amdhsa_user_sgpr_flat_scratch_init 0
		.amdhsa_user_sgpr_kernarg_preload_length 0
		.amdhsa_user_sgpr_kernarg_preload_offset 0
		.amdhsa_user_sgpr_private_segment_size 0
		.amdhsa_uses_dynamic_stack 0
		.amdhsa_system_sgpr_private_segment_wavefront_offset 0
		.amdhsa_system_sgpr_workgroup_id_x 1
		.amdhsa_system_sgpr_workgroup_id_y 0
		.amdhsa_system_sgpr_workgroup_id_z 0
		.amdhsa_system_sgpr_workgroup_info 0
		.amdhsa_system_vgpr_workitem_id 0
		.amdhsa_next_free_vgpr 18
		.amdhsa_next_free_sgpr 14
		.amdhsa_accum_offset 20
		.amdhsa_reserve_vcc 1
		.amdhsa_reserve_flat_scratch 0
		.amdhsa_float_round_mode_32 0
		.amdhsa_float_round_mode_16_64 0
		.amdhsa_float_denorm_mode_32 3
		.amdhsa_float_denorm_mode_16_64 3
		.amdhsa_dx10_clamp 1
		.amdhsa_ieee_mode 1
		.amdhsa_fp16_overflow 0
		.amdhsa_tg_split 0
		.amdhsa_exception_fp_ieee_invalid_op 0
		.amdhsa_exception_fp_denorm_src 0
		.amdhsa_exception_fp_ieee_div_zero 0
		.amdhsa_exception_fp_ieee_overflow 0
		.amdhsa_exception_fp_ieee_underflow 0
		.amdhsa_exception_fp_ieee_inexact 0
		.amdhsa_exception_int_div_zero 0
	.end_amdhsa_kernel
	.section	.text._Z6kernelI26subtract_left_partial_tileLj256ELj3ELb1EJPdPiS1_jEEvDpT3_,"axG",@progbits,_Z6kernelI26subtract_left_partial_tileLj256ELj3ELb1EJPdPiS1_jEEvDpT3_,comdat
.Lfunc_end175:
	.size	_Z6kernelI26subtract_left_partial_tileLj256ELj3ELb1EJPdPiS1_jEEvDpT3_, .Lfunc_end175-_Z6kernelI26subtract_left_partial_tileLj256ELj3ELb1EJPdPiS1_jEEvDpT3_
                                        ; -- End function
	.section	.AMDGPU.csdata,"",@progbits
; Kernel info:
; codeLenInByte = 548
; NumSgprs: 18
; NumVgprs: 18
; NumAgprs: 0
; TotalNumVgprs: 18
; ScratchSize: 0
; MemoryBound: 0
; FloatMode: 240
; IeeeMode: 1
; LDSByteSize: 4096 bytes/workgroup (compile time only)
; SGPRBlocks: 2
; VGPRBlocks: 2
; NumSGPRsForWavesPerEU: 18
; NumVGPRsForWavesPerEU: 18
; AccumOffset: 20
; Occupancy: 8
; WaveLimiterHint : 1
; COMPUTE_PGM_RSRC2:SCRATCH_EN: 0
; COMPUTE_PGM_RSRC2:USER_SGPR: 6
; COMPUTE_PGM_RSRC2:TRAP_HANDLER: 0
; COMPUTE_PGM_RSRC2:TGID_X_EN: 1
; COMPUTE_PGM_RSRC2:TGID_Y_EN: 0
; COMPUTE_PGM_RSRC2:TGID_Z_EN: 0
; COMPUTE_PGM_RSRC2:TIDIG_COMP_CNT: 0
; COMPUTE_PGM_RSRC3_GFX90A:ACCUM_OFFSET: 4
; COMPUTE_PGM_RSRC3_GFX90A:TG_SPLIT: 0
	.section	.text._Z6kernelI26subtract_left_partial_tileLj256ELj4ELb1EJPdPiS1_jEEvDpT3_,"axG",@progbits,_Z6kernelI26subtract_left_partial_tileLj256ELj4ELb1EJPdPiS1_jEEvDpT3_,comdat
	.protected	_Z6kernelI26subtract_left_partial_tileLj256ELj4ELb1EJPdPiS1_jEEvDpT3_ ; -- Begin function _Z6kernelI26subtract_left_partial_tileLj256ELj4ELb1EJPdPiS1_jEEvDpT3_
	.globl	_Z6kernelI26subtract_left_partial_tileLj256ELj4ELb1EJPdPiS1_jEEvDpT3_
	.p2align	8
	.type	_Z6kernelI26subtract_left_partial_tileLj256ELj4ELb1EJPdPiS1_jEEvDpT3_,@function
_Z6kernelI26subtract_left_partial_tileLj256ELj4ELb1EJPdPiS1_jEEvDpT3_: ; @_Z6kernelI26subtract_left_partial_tileLj256ELj4ELb1EJPdPiS1_jEEvDpT3_
; %bb.0:
	s_load_dwordx4 s[0:3], s[4:5], 0x0
	s_load_dwordx2 s[8:9], s[4:5], 0x10
	s_lshl_b32 s12, s6, 10
	s_mov_b32 s13, 0
	s_lshl_b64 s[10:11], s[12:13], 3
	s_waitcnt lgkmcnt(0)
	s_add_u32 s0, s0, s10
	s_addc_u32 s1, s1, s11
	v_lshlrev_b32_e32 v1, 3, v0
	v_mov_b32_e32 v2, s1
	v_add_co_u32_e32 v6, vcc, s0, v1
	v_addc_co_u32_e32 v7, vcc, 0, v2, vcc
	global_load_dwordx2 v[2:3], v1, s[0:1]
	global_load_dwordx2 v[4:5], v1, s[0:1] offset:2048
	s_movk_i32 s0, 0x1000
	v_add_co_u32_e32 v10, vcc, s0, v6
	v_addc_co_u32_e32 v11, vcc, 0, v7, vcc
	global_load_dwordx2 v[6:7], v[10:11], off
	global_load_dwordx2 v[8:9], v[10:11], off offset:2048
	s_load_dword s4, s[4:5], 0x18
	s_mov_b32 s7, s13
	s_lshl_b64 s[0:1], s[6:7], 2
	s_add_u32 s0, s2, s0
	s_addc_u32 s1, s3, s1
	s_waitcnt lgkmcnt(0)
	v_cvt_f32_u32_e32 v10, s4
	s_load_dword s2, s[0:1], 0x0
	s_sub_i32 s0, 0, s4
	v_lshlrev_b32_e32 v12, 2, v0
	v_rcp_iflag_f32_e32 v10, v10
	v_or_b32_e32 v13, 3, v12
	v_or_b32_e32 v14, 2, v12
	;; [unrolled: 1-line block ×3, first 2 shown]
	v_mul_f32_e32 v10, 0x4f7ffffe, v10
	v_cvt_u32_f32_e32 v10, v10
	v_cmp_ne_u32_e32 vcc, 0, v0
	v_add_u32_e32 v16, -8, v1
	v_readfirstlane_b32 s1, v10
	s_mul_i32 s0, s0, s1
	s_mul_hi_u32 s0, s1, s0
	s_add_i32 s1, s1, s0
	s_lshr_b32 s0, s1, 22
	s_mul_i32 s1, s0, s4
	s_sub_i32 s1, 0x400, s1
	s_add_i32 s3, s0, 1
	s_sub_i32 s5, s1, s4
	s_cmp_ge_u32 s1, s4
	s_cselect_b32 s0, s3, s0
	s_cselect_b32 s1, s5, s1
	s_add_i32 s3, s0, 1
	s_cmp_ge_u32 s1, s4
	s_cselect_b32 s3, s3, s0
	s_add_i32 s3, s3, 1
	s_max_u32 s4, s4, 1
	s_branch .LBB176_2
.LBB176_1:                              ;   in Loop: Header=BB176_2 Depth=1
	s_or_b64 exec, exec, s[0:1]
	v_add_f64 v[18:19], v[8:9], -v[6:7]
	v_cmp_gt_u32_e64 s[0:1], s2, v13
	v_cndmask_b32_e64 v19, v9, v19, s[0:1]
	v_cndmask_b32_e64 v18, v8, v18, s[0:1]
	v_add_f64 v[20:21], v[6:7], -v[4:5]
	v_cmp_gt_u32_e64 s[0:1], s2, v14
	v_cndmask_b32_e64 v21, v7, v21, s[0:1]
	v_cndmask_b32_e64 v20, v6, v20, s[0:1]
	;; [unrolled: 4-line block ×3, first 2 shown]
	s_waitcnt lgkmcnt(0)
	v_add_f64 v[10:11], v[2:3], -v[10:11]
	v_cmp_gt_u32_e64 s[0:1], s2, v12
	v_cndmask_b32_e64 v11, v3, v11, s[0:1]
	v_cndmask_b32_e64 v10, v2, v10, s[0:1]
	s_add_i32 s0, s3, s2
	s_and_b32 s2, s0, 0x3ff
	s_add_i32 s4, s4, -1
	v_add_f64 v[2:3], v[2:3], v[10:11]
	v_add_f64 v[4:5], v[4:5], v[22:23]
	;; [unrolled: 1-line block ×4, first 2 shown]
	s_cmp_lg_u32 s4, 0
	s_barrier
	s_cbranch_scc0 .LBB176_4
.LBB176_2:                              ; =>This Inner Loop Header: Depth=1
	v_mov_b32_e32 v10, 0
	v_mov_b32_e32 v11, 0x405ec000
	s_waitcnt vmcnt(0)
	ds_write_b64 v1, v[8:9]
	s_waitcnt lgkmcnt(0)
	s_barrier
	s_and_saveexec_b64 s[0:1], vcc
	s_cbranch_execz .LBB176_1
; %bb.3:                                ;   in Loop: Header=BB176_2 Depth=1
	ds_read_b64 v[10:11], v16
	s_branch .LBB176_1
.LBB176_4:
	s_add_u32 s0, s8, s10
	s_addc_u32 s1, s9, s11
	v_lshlrev_b32_e32 v0, 3, v0
	v_mov_b32_e32 v1, s1
	v_add_co_u32_e32 v10, vcc, s0, v0
	v_addc_co_u32_e32 v1, vcc, 0, v1, vcc
	global_store_dwordx2 v0, v[2:3], s[0:1]
	global_store_dwordx2 v0, v[4:5], s[0:1] offset:2048
	v_add_co_u32_e32 v0, vcc, 0x1000, v10
	v_addc_co_u32_e32 v1, vcc, 0, v1, vcc
	global_store_dwordx2 v[0:1], v[6:7], off
	global_store_dwordx2 v[0:1], v[8:9], off offset:2048
	s_endpgm
	.section	.rodata,"a",@progbits
	.p2align	6, 0x0
	.amdhsa_kernel _Z6kernelI26subtract_left_partial_tileLj256ELj4ELb1EJPdPiS1_jEEvDpT3_
		.amdhsa_group_segment_fixed_size 4096
		.amdhsa_private_segment_fixed_size 0
		.amdhsa_kernarg_size 28
		.amdhsa_user_sgpr_count 6
		.amdhsa_user_sgpr_private_segment_buffer 1
		.amdhsa_user_sgpr_dispatch_ptr 0
		.amdhsa_user_sgpr_queue_ptr 0
		.amdhsa_user_sgpr_kernarg_segment_ptr 1
		.amdhsa_user_sgpr_dispatch_id 0
		.amdhsa_user_sgpr_flat_scratch_init 0
		.amdhsa_user_sgpr_kernarg_preload_length 0
		.amdhsa_user_sgpr_kernarg_preload_offset 0
		.amdhsa_user_sgpr_private_segment_size 0
		.amdhsa_uses_dynamic_stack 0
		.amdhsa_system_sgpr_private_segment_wavefront_offset 0
		.amdhsa_system_sgpr_workgroup_id_x 1
		.amdhsa_system_sgpr_workgroup_id_y 0
		.amdhsa_system_sgpr_workgroup_id_z 0
		.amdhsa_system_sgpr_workgroup_info 0
		.amdhsa_system_vgpr_workitem_id 0
		.amdhsa_next_free_vgpr 24
		.amdhsa_next_free_sgpr 14
		.amdhsa_accum_offset 24
		.amdhsa_reserve_vcc 1
		.amdhsa_reserve_flat_scratch 0
		.amdhsa_float_round_mode_32 0
		.amdhsa_float_round_mode_16_64 0
		.amdhsa_float_denorm_mode_32 3
		.amdhsa_float_denorm_mode_16_64 3
		.amdhsa_dx10_clamp 1
		.amdhsa_ieee_mode 1
		.amdhsa_fp16_overflow 0
		.amdhsa_tg_split 0
		.amdhsa_exception_fp_ieee_invalid_op 0
		.amdhsa_exception_fp_denorm_src 0
		.amdhsa_exception_fp_ieee_div_zero 0
		.amdhsa_exception_fp_ieee_overflow 0
		.amdhsa_exception_fp_ieee_underflow 0
		.amdhsa_exception_fp_ieee_inexact 0
		.amdhsa_exception_int_div_zero 0
	.end_amdhsa_kernel
	.section	.text._Z6kernelI26subtract_left_partial_tileLj256ELj4ELb1EJPdPiS1_jEEvDpT3_,"axG",@progbits,_Z6kernelI26subtract_left_partial_tileLj256ELj4ELb1EJPdPiS1_jEEvDpT3_,comdat
.Lfunc_end176:
	.size	_Z6kernelI26subtract_left_partial_tileLj256ELj4ELb1EJPdPiS1_jEEvDpT3_, .Lfunc_end176-_Z6kernelI26subtract_left_partial_tileLj256ELj4ELb1EJPdPiS1_jEEvDpT3_
                                        ; -- End function
	.section	.AMDGPU.csdata,"",@progbits
; Kernel info:
; codeLenInByte = 580
; NumSgprs: 18
; NumVgprs: 24
; NumAgprs: 0
; TotalNumVgprs: 24
; ScratchSize: 0
; MemoryBound: 0
; FloatMode: 240
; IeeeMode: 1
; LDSByteSize: 4096 bytes/workgroup (compile time only)
; SGPRBlocks: 2
; VGPRBlocks: 2
; NumSGPRsForWavesPerEU: 18
; NumVGPRsForWavesPerEU: 24
; AccumOffset: 24
; Occupancy: 8
; WaveLimiterHint : 1
; COMPUTE_PGM_RSRC2:SCRATCH_EN: 0
; COMPUTE_PGM_RSRC2:USER_SGPR: 6
; COMPUTE_PGM_RSRC2:TRAP_HANDLER: 0
; COMPUTE_PGM_RSRC2:TGID_X_EN: 1
; COMPUTE_PGM_RSRC2:TGID_Y_EN: 0
; COMPUTE_PGM_RSRC2:TGID_Z_EN: 0
; COMPUTE_PGM_RSRC2:TIDIG_COMP_CNT: 0
; COMPUTE_PGM_RSRC3_GFX90A:ACCUM_OFFSET: 5
; COMPUTE_PGM_RSRC3_GFX90A:TG_SPLIT: 0
	.section	.text._Z6kernelI26subtract_left_partial_tileLj256ELj8ELb1EJPdPiS1_jEEvDpT3_,"axG",@progbits,_Z6kernelI26subtract_left_partial_tileLj256ELj8ELb1EJPdPiS1_jEEvDpT3_,comdat
	.protected	_Z6kernelI26subtract_left_partial_tileLj256ELj8ELb1EJPdPiS1_jEEvDpT3_ ; -- Begin function _Z6kernelI26subtract_left_partial_tileLj256ELj8ELb1EJPdPiS1_jEEvDpT3_
	.globl	_Z6kernelI26subtract_left_partial_tileLj256ELj8ELb1EJPdPiS1_jEEvDpT3_
	.p2align	8
	.type	_Z6kernelI26subtract_left_partial_tileLj256ELj8ELb1EJPdPiS1_jEEvDpT3_,@function
_Z6kernelI26subtract_left_partial_tileLj256ELj8ELb1EJPdPiS1_jEEvDpT3_: ; @_Z6kernelI26subtract_left_partial_tileLj256ELj8ELb1EJPdPiS1_jEEvDpT3_
; %bb.0:
	s_load_dwordx4 s[0:3], s[4:5], 0x0
	s_load_dwordx2 s[8:9], s[4:5], 0x10
	s_lshl_b32 s12, s6, 11
	s_mov_b32 s13, 0
	s_lshl_b64 s[10:11], s[12:13], 3
	s_waitcnt lgkmcnt(0)
	s_add_u32 s0, s0, s10
	s_addc_u32 s1, s1, s11
	v_lshlrev_b32_e32 v1, 3, v0
	v_mov_b32_e32 v2, s1
	v_add_co_u32_e32 v12, vcc, s0, v1
	v_addc_co_u32_e32 v13, vcc, 0, v2, vcc
	global_load_dwordx2 v[4:5], v1, s[0:1]
	global_load_dwordx2 v[2:3], v1, s[0:1] offset:2048
	s_movk_i32 s0, 0x1000
	v_add_co_u32_e32 v18, vcc, s0, v12
	v_addc_co_u32_e32 v19, vcc, 0, v13, vcc
	s_movk_i32 s0, 0x2000
	v_add_co_u32_e32 v10, vcc, s0, v12
	v_addc_co_u32_e32 v11, vcc, 0, v13, vcc
	s_movk_i32 s0, 0x3000
	v_add_co_u32_e32 v20, vcc, s0, v12
	global_load_dwordx2 v[14:15], v[10:11], off offset:-4096
	global_load_dwordx2 v[8:9], v[10:11], off
	global_load_dwordx2 v[6:7], v[10:11], off offset:2048
	v_addc_co_u32_e32 v21, vcc, 0, v13, vcc
	global_load_dwordx2 v[16:17], v[18:19], off offset:2048
	global_load_dwordx2 v[10:11], v[20:21], off
	global_load_dwordx2 v[12:13], v[20:21], off offset:2048
	s_load_dword s4, s[4:5], 0x18
	s_mov_b32 s7, s13
	s_lshl_b64 s[0:1], s[6:7], 2
	s_add_u32 s0, s2, s0
	s_addc_u32 s1, s3, s1
	s_waitcnt lgkmcnt(0)
	v_cvt_f32_u32_e32 v18, s4
	s_load_dword s2, s[0:1], 0x0
	s_sub_i32 s0, 0, s4
	v_or_b32_e32 v20, 7, v1
	v_rcp_iflag_f32_e32 v18, v18
	v_or_b32_e32 v21, 6, v1
	v_or_b32_e32 v22, 5, v1
	v_or_b32_e32 v23, 4, v1
	v_mul_f32_e32 v18, 0x4f7ffffe, v18
	v_cvt_u32_f32_e32 v18, v18
	v_or_b32_e32 v24, 3, v1
	v_or_b32_e32 v25, 2, v1
	;; [unrolled: 1-line block ×3, first 2 shown]
	v_readfirstlane_b32 s1, v18
	s_mul_i32 s0, s0, s1
	s_mul_hi_u32 s0, s1, s0
	s_add_i32 s1, s1, s0
	s_lshr_b32 s0, s1, 21
	s_mul_i32 s1, s0, s4
	s_sub_i32 s1, 0x800, s1
	s_add_i32 s3, s0, 1
	s_sub_i32 s5, s1, s4
	s_cmp_ge_u32 s1, s4
	s_cselect_b32 s0, s3, s0
	s_cselect_b32 s1, s5, s1
	s_add_i32 s3, s0, 1
	s_cmp_ge_u32 s1, s4
	s_cselect_b32 s3, s3, s0
	s_add_i32 s3, s3, 1
	v_cmp_ne_u32_e32 vcc, 0, v0
	v_add_u32_e32 v27, -8, v1
	s_max_u32 s4, s4, 1
	s_branch .LBB177_2
.LBB177_1:                              ;   in Loop: Header=BB177_2 Depth=1
	s_or_b64 exec, exec, s[0:1]
	v_add_f64 v[28:29], v[12:13], -v[10:11]
	v_cmp_gt_u32_e64 s[0:1], s2, v20
	v_cndmask_b32_e64 v29, v13, v29, s[0:1]
	v_cndmask_b32_e64 v28, v12, v28, s[0:1]
	v_add_f64 v[30:31], v[10:11], -v[6:7]
	v_cmp_gt_u32_e64 s[0:1], s2, v21
	v_cndmask_b32_e64 v31, v11, v31, s[0:1]
	v_cndmask_b32_e64 v30, v10, v30, s[0:1]
	;; [unrolled: 4-line block ×7, first 2 shown]
	s_waitcnt lgkmcnt(0)
	v_add_f64 v[18:19], v[4:5], -v[18:19]
	v_cmp_gt_u32_e64 s[0:1], s2, v1
	v_cndmask_b32_e64 v19, v5, v19, s[0:1]
	v_cndmask_b32_e64 v18, v4, v18, s[0:1]
	s_add_i32 s0, s3, s2
	s_and_b32 s2, s0, 0x7ff
	s_add_i32 s4, s4, -1
	v_add_f64 v[4:5], v[4:5], v[18:19]
	v_add_f64 v[2:3], v[2:3], v[40:41]
	;; [unrolled: 1-line block ×8, first 2 shown]
	s_cmp_lg_u32 s4, 0
	s_barrier
	s_cbranch_scc0 .LBB177_4
.LBB177_2:                              ; =>This Inner Loop Header: Depth=1
	v_mov_b32_e32 v18, 0
	v_mov_b32_e32 v19, 0x405ec000
	s_waitcnt vmcnt(0)
	ds_write_b64 v1, v[12:13]
	s_waitcnt lgkmcnt(0)
	s_barrier
	s_and_saveexec_b64 s[0:1], vcc
	s_cbranch_execz .LBB177_1
; %bb.3:                                ;   in Loop: Header=BB177_2 Depth=1
	ds_read_b64 v[18:19], v27
	s_branch .LBB177_1
.LBB177_4:
	s_add_u32 s0, s8, s10
	s_addc_u32 s1, s9, s11
	v_lshlrev_b32_e32 v0, 3, v0
	v_mov_b32_e32 v1, s1
	v_add_co_u32_e32 v18, vcc, s0, v0
	v_addc_co_u32_e32 v19, vcc, 0, v1, vcc
	global_store_dwordx2 v0, v[4:5], s[0:1]
	global_store_dwordx2 v0, v[2:3], s[0:1] offset:2048
	v_add_co_u32_e32 v0, vcc, 0x1000, v18
	v_addc_co_u32_e32 v1, vcc, 0, v19, vcc
	global_store_dwordx2 v[0:1], v[14:15], off
	global_store_dwordx2 v[0:1], v[16:17], off offset:2048
	v_add_co_u32_e32 v0, vcc, 0x2000, v18
	v_addc_co_u32_e32 v1, vcc, 0, v19, vcc
	global_store_dwordx2 v[0:1], v[8:9], off
	global_store_dwordx2 v[0:1], v[6:7], off offset:2048
	;; [unrolled: 4-line block ×3, first 2 shown]
	s_endpgm
	.section	.rodata,"a",@progbits
	.p2align	6, 0x0
	.amdhsa_kernel _Z6kernelI26subtract_left_partial_tileLj256ELj8ELb1EJPdPiS1_jEEvDpT3_
		.amdhsa_group_segment_fixed_size 4096
		.amdhsa_private_segment_fixed_size 0
		.amdhsa_kernarg_size 28
		.amdhsa_user_sgpr_count 6
		.amdhsa_user_sgpr_private_segment_buffer 1
		.amdhsa_user_sgpr_dispatch_ptr 0
		.amdhsa_user_sgpr_queue_ptr 0
		.amdhsa_user_sgpr_kernarg_segment_ptr 1
		.amdhsa_user_sgpr_dispatch_id 0
		.amdhsa_user_sgpr_flat_scratch_init 0
		.amdhsa_user_sgpr_kernarg_preload_length 0
		.amdhsa_user_sgpr_kernarg_preload_offset 0
		.amdhsa_user_sgpr_private_segment_size 0
		.amdhsa_uses_dynamic_stack 0
		.amdhsa_system_sgpr_private_segment_wavefront_offset 0
		.amdhsa_system_sgpr_workgroup_id_x 1
		.amdhsa_system_sgpr_workgroup_id_y 0
		.amdhsa_system_sgpr_workgroup_id_z 0
		.amdhsa_system_sgpr_workgroup_info 0
		.amdhsa_system_vgpr_workitem_id 0
		.amdhsa_next_free_vgpr 42
		.amdhsa_next_free_sgpr 14
		.amdhsa_accum_offset 44
		.amdhsa_reserve_vcc 1
		.amdhsa_reserve_flat_scratch 0
		.amdhsa_float_round_mode_32 0
		.amdhsa_float_round_mode_16_64 0
		.amdhsa_float_denorm_mode_32 3
		.amdhsa_float_denorm_mode_16_64 3
		.amdhsa_dx10_clamp 1
		.amdhsa_ieee_mode 1
		.amdhsa_fp16_overflow 0
		.amdhsa_tg_split 0
		.amdhsa_exception_fp_ieee_invalid_op 0
		.amdhsa_exception_fp_denorm_src 0
		.amdhsa_exception_fp_ieee_div_zero 0
		.amdhsa_exception_fp_ieee_overflow 0
		.amdhsa_exception_fp_ieee_underflow 0
		.amdhsa_exception_fp_ieee_inexact 0
		.amdhsa_exception_int_div_zero 0
	.end_amdhsa_kernel
	.section	.text._Z6kernelI26subtract_left_partial_tileLj256ELj8ELb1EJPdPiS1_jEEvDpT3_,"axG",@progbits,_Z6kernelI26subtract_left_partial_tileLj256ELj8ELb1EJPdPiS1_jEEvDpT3_,comdat
.Lfunc_end177:
	.size	_Z6kernelI26subtract_left_partial_tileLj256ELj8ELb1EJPdPiS1_jEEvDpT3_, .Lfunc_end177-_Z6kernelI26subtract_left_partial_tileLj256ELj8ELb1EJPdPiS1_jEEvDpT3_
                                        ; -- End function
	.section	.AMDGPU.csdata,"",@progbits
; Kernel info:
; codeLenInByte = 864
; NumSgprs: 18
; NumVgprs: 42
; NumAgprs: 0
; TotalNumVgprs: 42
; ScratchSize: 0
; MemoryBound: 0
; FloatMode: 240
; IeeeMode: 1
; LDSByteSize: 4096 bytes/workgroup (compile time only)
; SGPRBlocks: 2
; VGPRBlocks: 5
; NumSGPRsForWavesPerEU: 18
; NumVGPRsForWavesPerEU: 42
; AccumOffset: 44
; Occupancy: 8
; WaveLimiterHint : 1
; COMPUTE_PGM_RSRC2:SCRATCH_EN: 0
; COMPUTE_PGM_RSRC2:USER_SGPR: 6
; COMPUTE_PGM_RSRC2:TRAP_HANDLER: 0
; COMPUTE_PGM_RSRC2:TGID_X_EN: 1
; COMPUTE_PGM_RSRC2:TGID_Y_EN: 0
; COMPUTE_PGM_RSRC2:TGID_Z_EN: 0
; COMPUTE_PGM_RSRC2:TIDIG_COMP_CNT: 0
; COMPUTE_PGM_RSRC3_GFX90A:ACCUM_OFFSET: 10
; COMPUTE_PGM_RSRC3_GFX90A:TG_SPLIT: 0
	.section	.text._Z6kernelI26subtract_left_partial_tileLj256ELj16ELb1EJPdPiS1_jEEvDpT3_,"axG",@progbits,_Z6kernelI26subtract_left_partial_tileLj256ELj16ELb1EJPdPiS1_jEEvDpT3_,comdat
	.protected	_Z6kernelI26subtract_left_partial_tileLj256ELj16ELb1EJPdPiS1_jEEvDpT3_ ; -- Begin function _Z6kernelI26subtract_left_partial_tileLj256ELj16ELb1EJPdPiS1_jEEvDpT3_
	.globl	_Z6kernelI26subtract_left_partial_tileLj256ELj16ELb1EJPdPiS1_jEEvDpT3_
	.p2align	8
	.type	_Z6kernelI26subtract_left_partial_tileLj256ELj16ELb1EJPdPiS1_jEEvDpT3_,@function
_Z6kernelI26subtract_left_partial_tileLj256ELj16ELb1EJPdPiS1_jEEvDpT3_: ; @_Z6kernelI26subtract_left_partial_tileLj256ELj16ELb1EJPdPiS1_jEEvDpT3_
; %bb.0:
	s_load_dwordx4 s[0:3], s[4:5], 0x0
	s_load_dwordx2 s[8:9], s[4:5], 0x10
	s_lshl_b32 s12, s6, 12
	s_mov_b32 s13, 0
	s_lshl_b64 s[10:11], s[12:13], 3
	s_waitcnt lgkmcnt(0)
	s_add_u32 s0, s0, s10
	s_addc_u32 s1, s1, s11
	v_lshlrev_b32_e32 v1, 3, v0
	v_mov_b32_e32 v2, s1
	v_add_co_u32_e32 v28, vcc, s0, v1
	v_addc_co_u32_e32 v29, vcc, 0, v2, vcc
	global_load_dwordx2 v[4:5], v1, s[0:1]
	global_load_dwordx2 v[2:3], v1, s[0:1] offset:2048
	s_movk_i32 s0, 0x1000
	v_add_co_u32_e32 v34, vcc, s0, v28
	v_addc_co_u32_e32 v35, vcc, 0, v29, vcc
	s_movk_i32 s0, 0x2000
	v_add_co_u32_e32 v6, vcc, s0, v28
	v_addc_co_u32_e32 v7, vcc, 0, v29, vcc
	;; [unrolled: 3-line block ×6, first 2 shown]
	s_movk_i32 s0, 0x7000
	v_add_co_u32_e32 v40, vcc, s0, v28
	global_load_dwordx2 v[26:27], v[6:7], off offset:-4096
	global_load_dwordx2 v[18:19], v[6:7], off
	global_load_dwordx2 v[16:17], v[6:7], off offset:2048
	global_load_dwordx2 v[10:11], v[12:13], off offset:-4096
	global_load_dwordx2 v[24:25], v[12:13], off
	global_load_dwordx2 v[22:23], v[12:13], off offset:2048
	;; [unrolled: 3-line block ×3, first 2 shown]
	v_addc_co_u32_e32 v41, vcc, 0, v29, vcc
	global_load_dwordx2 v[32:33], v[34:35], off offset:2048
	global_load_dwordx2 v[30:31], v[36:37], off offset:2048
	;; [unrolled: 1-line block ×3, first 2 shown]
	global_load_dwordx2 v[12:13], v[40:41], off
	global_load_dwordx2 v[20:21], v[40:41], off offset:2048
	s_load_dword s4, s[4:5], 0x18
	s_mov_b32 s7, s13
	s_lshl_b64 s[0:1], s[6:7], 2
	s_add_u32 s0, s2, s0
	s_addc_u32 s1, s3, s1
	s_waitcnt lgkmcnt(0)
	v_cvt_f32_u32_e32 v34, s4
	s_load_dword s2, s[0:1], 0x0
	s_sub_i32 s0, 0, s4
	v_lshlrev_b32_e32 v36, 4, v0
	v_rcp_iflag_f32_e32 v34, v34
	v_or_b32_e32 v37, 15, v36
	v_or_b32_e32 v38, 14, v36
	;; [unrolled: 1-line block ×3, first 2 shown]
	v_mul_f32_e32 v34, 0x4f7ffffe, v34
	v_cvt_u32_f32_e32 v34, v34
	v_or_b32_e32 v40, 12, v36
	v_or_b32_e32 v41, 11, v36
	;; [unrolled: 1-line block ×3, first 2 shown]
	v_readfirstlane_b32 s1, v34
	s_mul_i32 s0, s0, s1
	s_mul_hi_u32 s0, s1, s0
	s_add_i32 s1, s1, s0
	s_lshr_b32 s0, s1, 20
	s_mul_i32 s1, s0, s4
	s_sub_i32 s1, 0x1000, s1
	s_add_i32 s3, s0, 1
	s_sub_i32 s5, s1, s4
	s_cmp_ge_u32 s1, s4
	s_cselect_b32 s0, s3, s0
	s_cselect_b32 s1, s5, s1
	s_add_i32 s3, s0, 1
	s_cmp_ge_u32 s1, s4
	s_cselect_b32 s3, s3, s0
	s_add_i32 s3, s3, 1
	v_or_b32_e32 v43, 9, v36
	v_or_b32_e32 v44, 8, v36
	;; [unrolled: 1-line block ×9, first 2 shown]
	v_cmp_ne_u32_e32 vcc, 0, v0
	v_add_u32_e32 v52, -8, v1
	s_max_u32 s4, s4, 1
	s_branch .LBB178_2
.LBB178_1:                              ;   in Loop: Header=BB178_2 Depth=1
	s_or_b64 exec, exec, s[0:1]
	v_add_f64 v[54:55], v[20:21], -v[12:13]
	v_cmp_gt_u32_e64 s[0:1], s2, v37
	v_cndmask_b32_e64 v55, v21, v55, s[0:1]
	v_cndmask_b32_e64 v54, v20, v54, s[0:1]
	v_add_f64 v[56:57], v[12:13], -v[6:7]
	v_cmp_gt_u32_e64 s[0:1], s2, v38
	v_cndmask_b32_e64 v57, v13, v57, s[0:1]
	v_cndmask_b32_e64 v56, v12, v56, s[0:1]
	;; [unrolled: 4-line block ×15, first 2 shown]
	s_waitcnt lgkmcnt(0)
	v_add_f64 v[34:35], v[4:5], -v[34:35]
	v_cmp_gt_u32_e64 s[0:1], s2, v36
	v_cndmask_b32_e64 v35, v5, v35, s[0:1]
	v_cndmask_b32_e64 v34, v4, v34, s[0:1]
	s_add_i32 s0, s3, s2
	s_and_b32 s2, s0, 0xfff
	s_add_i32 s4, s4, -1
	v_add_f64 v[4:5], v[4:5], v[34:35]
	v_add_f64 v[2:3], v[2:3], v[82:83]
	;; [unrolled: 1-line block ×16, first 2 shown]
	s_cmp_lg_u32 s4, 0
	s_barrier
	s_cbranch_scc0 .LBB178_4
.LBB178_2:                              ; =>This Inner Loop Header: Depth=1
	v_mov_b32_e32 v34, 0
	v_mov_b32_e32 v35, 0x405ec000
	s_waitcnt vmcnt(0)
	ds_write_b64 v1, v[20:21]
	s_waitcnt lgkmcnt(0)
	s_barrier
	s_and_saveexec_b64 s[0:1], vcc
	s_cbranch_execz .LBB178_1
; %bb.3:                                ;   in Loop: Header=BB178_2 Depth=1
	ds_read_b64 v[34:35], v52
	s_branch .LBB178_1
.LBB178_4:
	s_add_u32 s0, s8, s10
	s_addc_u32 s1, s9, s11
	v_lshlrev_b32_e32 v0, 3, v0
	v_mov_b32_e32 v1, s1
	v_add_co_u32_e32 v34, vcc, s0, v0
	v_addc_co_u32_e32 v35, vcc, 0, v1, vcc
	global_store_dwordx2 v0, v[4:5], s[0:1]
	global_store_dwordx2 v0, v[2:3], s[0:1] offset:2048
	v_add_co_u32_e32 v0, vcc, 0x1000, v34
	v_addc_co_u32_e32 v1, vcc, 0, v35, vcc
	global_store_dwordx2 v[0:1], v[26:27], off
	global_store_dwordx2 v[0:1], v[32:33], off offset:2048
	v_add_co_u32_e32 v0, vcc, 0x2000, v34
	v_addc_co_u32_e32 v1, vcc, 0, v35, vcc
	global_store_dwordx2 v[0:1], v[18:19], off
	global_store_dwordx2 v[0:1], v[16:17], off offset:2048
	;; [unrolled: 4-line block ×7, first 2 shown]
	s_endpgm
	.section	.rodata,"a",@progbits
	.p2align	6, 0x0
	.amdhsa_kernel _Z6kernelI26subtract_left_partial_tileLj256ELj16ELb1EJPdPiS1_jEEvDpT3_
		.amdhsa_group_segment_fixed_size 4096
		.amdhsa_private_segment_fixed_size 0
		.amdhsa_kernarg_size 28
		.amdhsa_user_sgpr_count 6
		.amdhsa_user_sgpr_private_segment_buffer 1
		.amdhsa_user_sgpr_dispatch_ptr 0
		.amdhsa_user_sgpr_queue_ptr 0
		.amdhsa_user_sgpr_kernarg_segment_ptr 1
		.amdhsa_user_sgpr_dispatch_id 0
		.amdhsa_user_sgpr_flat_scratch_init 0
		.amdhsa_user_sgpr_kernarg_preload_length 0
		.amdhsa_user_sgpr_kernarg_preload_offset 0
		.amdhsa_user_sgpr_private_segment_size 0
		.amdhsa_uses_dynamic_stack 0
		.amdhsa_system_sgpr_private_segment_wavefront_offset 0
		.amdhsa_system_sgpr_workgroup_id_x 1
		.amdhsa_system_sgpr_workgroup_id_y 0
		.amdhsa_system_sgpr_workgroup_id_z 0
		.amdhsa_system_sgpr_workgroup_info 0
		.amdhsa_system_vgpr_workitem_id 0
		.amdhsa_next_free_vgpr 84
		.amdhsa_next_free_sgpr 14
		.amdhsa_accum_offset 84
		.amdhsa_reserve_vcc 1
		.amdhsa_reserve_flat_scratch 0
		.amdhsa_float_round_mode_32 0
		.amdhsa_float_round_mode_16_64 0
		.amdhsa_float_denorm_mode_32 3
		.amdhsa_float_denorm_mode_16_64 3
		.amdhsa_dx10_clamp 1
		.amdhsa_ieee_mode 1
		.amdhsa_fp16_overflow 0
		.amdhsa_tg_split 0
		.amdhsa_exception_fp_ieee_invalid_op 0
		.amdhsa_exception_fp_denorm_src 0
		.amdhsa_exception_fp_ieee_div_zero 0
		.amdhsa_exception_fp_ieee_overflow 0
		.amdhsa_exception_fp_ieee_underflow 0
		.amdhsa_exception_fp_ieee_inexact 0
		.amdhsa_exception_int_div_zero 0
	.end_amdhsa_kernel
	.section	.text._Z6kernelI26subtract_left_partial_tileLj256ELj16ELb1EJPdPiS1_jEEvDpT3_,"axG",@progbits,_Z6kernelI26subtract_left_partial_tileLj256ELj16ELb1EJPdPiS1_jEEvDpT3_,comdat
.Lfunc_end178:
	.size	_Z6kernelI26subtract_left_partial_tileLj256ELj16ELb1EJPdPiS1_jEEvDpT3_, .Lfunc_end178-_Z6kernelI26subtract_left_partial_tileLj256ELj16ELb1EJPdPiS1_jEEvDpT3_
                                        ; -- End function
	.section	.AMDGPU.csdata,"",@progbits
; Kernel info:
; codeLenInByte = 1444
; NumSgprs: 18
; NumVgprs: 84
; NumAgprs: 0
; TotalNumVgprs: 84
; ScratchSize: 0
; MemoryBound: 0
; FloatMode: 240
; IeeeMode: 1
; LDSByteSize: 4096 bytes/workgroup (compile time only)
; SGPRBlocks: 2
; VGPRBlocks: 10
; NumSGPRsForWavesPerEU: 18
; NumVGPRsForWavesPerEU: 84
; AccumOffset: 84
; Occupancy: 5
; WaveLimiterHint : 1
; COMPUTE_PGM_RSRC2:SCRATCH_EN: 0
; COMPUTE_PGM_RSRC2:USER_SGPR: 6
; COMPUTE_PGM_RSRC2:TRAP_HANDLER: 0
; COMPUTE_PGM_RSRC2:TGID_X_EN: 1
; COMPUTE_PGM_RSRC2:TGID_Y_EN: 0
; COMPUTE_PGM_RSRC2:TGID_Z_EN: 0
; COMPUTE_PGM_RSRC2:TIDIG_COMP_CNT: 0
; COMPUTE_PGM_RSRC3_GFX90A:ACCUM_OFFSET: 20
; COMPUTE_PGM_RSRC3_GFX90A:TG_SPLIT: 0
	.section	.text._Z6kernelI26subtract_left_partial_tileLj256ELj32ELb1EJPdPiS1_jEEvDpT3_,"axG",@progbits,_Z6kernelI26subtract_left_partial_tileLj256ELj32ELb1EJPdPiS1_jEEvDpT3_,comdat
	.protected	_Z6kernelI26subtract_left_partial_tileLj256ELj32ELb1EJPdPiS1_jEEvDpT3_ ; -- Begin function _Z6kernelI26subtract_left_partial_tileLj256ELj32ELb1EJPdPiS1_jEEvDpT3_
	.globl	_Z6kernelI26subtract_left_partial_tileLj256ELj32ELb1EJPdPiS1_jEEvDpT3_
	.p2align	8
	.type	_Z6kernelI26subtract_left_partial_tileLj256ELj32ELb1EJPdPiS1_jEEvDpT3_,@function
_Z6kernelI26subtract_left_partial_tileLj256ELj32ELb1EJPdPiS1_jEEvDpT3_: ; @_Z6kernelI26subtract_left_partial_tileLj256ELj32ELb1EJPdPiS1_jEEvDpT3_
; %bb.0:
	s_load_dwordx4 s[0:3], s[4:5], 0x0
	s_load_dwordx2 s[8:9], s[4:5], 0x10
	s_lshl_b32 s12, s6, 13
	s_mov_b32 s13, 0
	s_lshl_b64 s[10:11], s[12:13], 3
	s_waitcnt lgkmcnt(0)
	s_add_u32 s0, s0, s10
	s_addc_u32 s1, s1, s11
	v_lshlrev_b32_e32 v1, 3, v0
	v_mov_b32_e32 v2, s1
	v_add_co_u32_e32 v46, vcc, s0, v1
	v_addc_co_u32_e32 v47, vcc, 0, v2, vcc
	s_movk_i32 s7, 0x1000
	v_add_co_u32_e32 v30, vcc, s7, v46
	v_addc_co_u32_e32 v31, vcc, 0, v47, vcc
	s_movk_i32 s7, 0x2000
	;; [unrolled: 3-line block ×7, first 2 shown]
	v_add_co_u32_e32 v42, vcc, s7, v46
	v_addc_co_u32_e32 v43, vcc, 0, v47, vcc
	s_mov_b32 s7, 0x8000
	v_add_co_u32_e32 v44, vcc, s7, v46
	v_addc_co_u32_e32 v45, vcc, 0, v47, vcc
	s_mov_b32 s7, 0x9000
	;; [unrolled: 3-line block ×3, first 2 shown]
	global_load_dwordx2 v[22:23], v[2:3], off offset:-4096
	global_load_dwordx2 v[10:11], v[2:3], off
	global_load_dwordx2 v[8:9], v[2:3], off offset:2048
	global_load_dwordx2 v[4:5], v[12:13], off offset:-4096
	global_load_dwordx2 v[18:19], v[12:13], off
	global_load_dwordx2 v[16:17], v[12:13], off offset:2048
	global_load_dwordx2 v[6:7], v[36:37], off offset:-4096
	s_nop 0
	global_load_dwordx2 v[2:3], v[36:37], off
	global_load_dwordx2 v[40:41], v[30:31], off offset:2048
	global_load_dwordx2 v[38:39], v[32:33], off offset:2048
	;; [unrolled: 1-line block ×5, first 2 shown]
	global_load_dwordx2 v[24:25], v[44:45], off offset:-4096
	global_load_dwordx2 v[14:15], v[44:45], off
	global_load_dwordx2 v[12:13], v[44:45], off offset:2048
	v_add_co_u32_e32 v42, vcc, s7, v46
	v_addc_co_u32_e32 v43, vcc, 0, v47, vcc
	s_mov_b32 s7, 0xb000
	v_add_co_u32_e32 v68, vcc, s7, v46
	v_addc_co_u32_e32 v69, vcc, 0, v47, vcc
	s_mov_b32 s7, 0xc000
	;; [unrolled: 3-line block ×5, first 2 shown]
	v_add_co_u32_e32 v76, vcc, s7, v46
	global_load_dwordx2 v[36:37], v[42:43], off offset:-4096
	global_load_dwordx2 v[34:35], v[42:43], off
	global_load_dwordx2 v[32:33], v[42:43], off offset:2048
	global_load_dwordx2 v[30:31], v[70:71], off offset:-4096
	v_addc_co_u32_e32 v77, vcc, 0, v47, vcc
	global_load_dwordx2 v[56:57], v[70:71], off
	global_load_dwordx2 v[54:55], v[70:71], off offset:2048
	global_load_dwordx2 v[50:51], v[74:75], off offset:-4096
	global_load_dwordx2 v[48:49], v[74:75], off
	global_load_dwordx2 v[46:47], v[74:75], off offset:2048
	global_load_dwordx2 v[60:61], v[66:67], off offset:2048
	;; [unrolled: 1-line block ×4, first 2 shown]
	global_load_dwordx2 v[42:43], v[76:77], off
	global_load_dwordx2 v[44:45], v[76:77], off offset:2048
	global_load_dwordx2 v[64:65], v1, s[0:1]
	global_load_dwordx2 v[62:63], v1, s[0:1] offset:2048
	s_load_dword s4, s[4:5], 0x18
	s_mov_b32 s7, s13
	s_lshl_b64 s[0:1], s[6:7], 2
	s_add_u32 s0, s2, s0
	s_addc_u32 s1, s3, s1
	s_waitcnt lgkmcnt(0)
	v_cvt_f32_u32_e32 v66, s4
	s_load_dword s2, s[0:1], 0x0
	s_sub_i32 s0, 0, s4
	v_lshlrev_b32_e32 v78, 5, v0
	v_rcp_iflag_f32_e32 v66, v66
	v_cmp_ne_u32_e32 vcc, 0, v0
	v_or_b32_e32 v79, 31, v78
	v_or_b32_e32 v80, 30, v78
	v_mul_f32_e32 v66, 0x4f7ffffe, v66
	v_cvt_u32_f32_e32 v66, v66
	v_or_b32_e32 v81, 29, v78
	v_or_b32_e32 v82, 28, v78
	;; [unrolled: 1-line block ×3, first 2 shown]
	v_readfirstlane_b32 s5, v66
	s_mul_i32 s0, s0, s5
	s_mul_hi_u32 s0, s5, s0
	s_add_i32 s5, s5, s0
	s_lshr_b32 s0, s5, 19
	s_mul_i32 s1, s0, s4
	s_sub_i32 s1, 0x2000, s1
	s_add_i32 s3, s0, 1
	s_sub_i32 s5, s1, s4
	s_cmp_ge_u32 s1, s4
	s_cselect_b32 s0, s3, s0
	s_cselect_b32 s1, s5, s1
	s_add_i32 s3, s0, 1
	s_cmp_ge_u32 s1, s4
	s_cselect_b32 s3, s3, s0
	s_add_i32 s3, s3, 1
	s_max_u32 s4, s4, 1
	v_or_b32_e32 v84, 26, v78
	v_or_b32_e32 v85, 25, v78
	;; [unrolled: 1-line block ×26, first 2 shown]
	v_add_u32_e32 v110, -8, v1
	s_branch .LBB179_2
.LBB179_1:                              ;   in Loop: Header=BB179_2 Depth=1
	s_or_b64 exec, exec, s[0:1]
	v_add_f64 v[66:67], v[44:45], -v[42:43]
	v_cmp_gt_u32_e64 s[0:1], s2, v79
	v_cndmask_b32_e64 v67, v45, v67, s[0:1]
	v_cndmask_b32_e64 v66, v44, v66, s[0:1]
	v_add_f64 v[68:69], v[42:43], -v[46:47]
	v_cmp_gt_u32_e64 s[0:1], s2, v80
	v_cndmask_b32_e64 v69, v43, v69, s[0:1]
	v_cndmask_b32_e64 v68, v42, v68, s[0:1]
	;; [unrolled: 4-line block ×29, first 2 shown]
	s_waitcnt vmcnt(0)
	v_add_f64 v[160:161], v[22:23], -v[62:63]
	v_cmp_gt_u32_e64 s[0:1], s2, v108
	v_cndmask_b32_e64 v161, v23, v161, s[0:1]
	v_cndmask_b32_e64 v160, v22, v160, s[0:1]
	v_add_f64 v[162:163], v[62:63], -v[64:65]
	v_cmp_gt_u32_e64 s[0:1], s2, v109
	v_cndmask_b32_e64 v163, v63, v163, s[0:1]
	v_cndmask_b32_e64 v162, v62, v162, s[0:1]
	s_waitcnt lgkmcnt(0)
	v_add_f64 v[72:73], v[64:65], -v[72:73]
	v_cmp_gt_u32_e64 s[0:1], s2, v78
	v_cndmask_b32_e64 v73, v65, v73, s[0:1]
	v_cndmask_b32_e64 v72, v64, v72, s[0:1]
	s_add_i32 s0, s3, s2
	s_and_b32 s2, s0, 0x1fff
	s_add_i32 s4, s4, -1
	v_add_f64 v[64:65], v[64:65], v[72:73]
	v_add_f64 v[62:63], v[62:63], v[162:163]
	;; [unrolled: 1-line block ×32, first 2 shown]
	s_cmp_lg_u32 s4, 0
	s_barrier
	s_cbranch_scc0 .LBB179_4
.LBB179_2:                              ; =>This Inner Loop Header: Depth=1
	v_mov_b32_e32 v72, 0
	v_mov_b32_e32 v73, 0x405ec000
	s_waitcnt vmcnt(2)
	ds_write_b64 v1, v[44:45]
	s_waitcnt lgkmcnt(0)
	s_barrier
	s_and_saveexec_b64 s[0:1], vcc
	s_cbranch_execz .LBB179_1
; %bb.3:                                ;   in Loop: Header=BB179_2 Depth=1
	ds_read_b64 v[72:73], v110
	s_branch .LBB179_1
.LBB179_4:
	s_add_u32 s0, s8, s10
	s_addc_u32 s1, s9, s11
	v_lshlrev_b32_e32 v0, 3, v0
	v_mov_b32_e32 v1, s1
	v_add_co_u32_e32 v66, vcc, s0, v0
	v_addc_co_u32_e32 v67, vcc, 0, v1, vcc
	global_store_dwordx2 v0, v[64:65], s[0:1]
	global_store_dwordx2 v0, v[62:63], s[0:1] offset:2048
	v_add_co_u32_e32 v0, vcc, 0x1000, v66
	v_addc_co_u32_e32 v1, vcc, 0, v67, vcc
	global_store_dwordx2 v[0:1], v[22:23], off
	global_store_dwordx2 v[0:1], v[40:41], off offset:2048
	v_add_co_u32_e32 v0, vcc, 0x2000, v66
	v_addc_co_u32_e32 v1, vcc, 0, v67, vcc
	global_store_dwordx2 v[0:1], v[10:11], off
	global_store_dwordx2 v[0:1], v[8:9], off offset:2048
	;; [unrolled: 4-line block ×15, first 2 shown]
	s_endpgm
	.section	.rodata,"a",@progbits
	.p2align	6, 0x0
	.amdhsa_kernel _Z6kernelI26subtract_left_partial_tileLj256ELj32ELb1EJPdPiS1_jEEvDpT3_
		.amdhsa_group_segment_fixed_size 4096
		.amdhsa_private_segment_fixed_size 0
		.amdhsa_kernarg_size 28
		.amdhsa_user_sgpr_count 6
		.amdhsa_user_sgpr_private_segment_buffer 1
		.amdhsa_user_sgpr_dispatch_ptr 0
		.amdhsa_user_sgpr_queue_ptr 0
		.amdhsa_user_sgpr_kernarg_segment_ptr 1
		.amdhsa_user_sgpr_dispatch_id 0
		.amdhsa_user_sgpr_flat_scratch_init 0
		.amdhsa_user_sgpr_kernarg_preload_length 0
		.amdhsa_user_sgpr_kernarg_preload_offset 0
		.amdhsa_user_sgpr_private_segment_size 0
		.amdhsa_uses_dynamic_stack 0
		.amdhsa_system_sgpr_private_segment_wavefront_offset 0
		.amdhsa_system_sgpr_workgroup_id_x 1
		.amdhsa_system_sgpr_workgroup_id_y 0
		.amdhsa_system_sgpr_workgroup_id_z 0
		.amdhsa_system_sgpr_workgroup_info 0
		.amdhsa_system_vgpr_workitem_id 0
		.amdhsa_next_free_vgpr 164
		.amdhsa_next_free_sgpr 14
		.amdhsa_accum_offset 164
		.amdhsa_reserve_vcc 1
		.amdhsa_reserve_flat_scratch 0
		.amdhsa_float_round_mode_32 0
		.amdhsa_float_round_mode_16_64 0
		.amdhsa_float_denorm_mode_32 3
		.amdhsa_float_denorm_mode_16_64 3
		.amdhsa_dx10_clamp 1
		.amdhsa_ieee_mode 1
		.amdhsa_fp16_overflow 0
		.amdhsa_tg_split 0
		.amdhsa_exception_fp_ieee_invalid_op 0
		.amdhsa_exception_fp_denorm_src 0
		.amdhsa_exception_fp_ieee_div_zero 0
		.amdhsa_exception_fp_ieee_overflow 0
		.amdhsa_exception_fp_ieee_underflow 0
		.amdhsa_exception_fp_ieee_inexact 0
		.amdhsa_exception_int_div_zero 0
	.end_amdhsa_kernel
	.section	.text._Z6kernelI26subtract_left_partial_tileLj256ELj32ELb1EJPdPiS1_jEEvDpT3_,"axG",@progbits,_Z6kernelI26subtract_left_partial_tileLj256ELj32ELb1EJPdPiS1_jEEvDpT3_,comdat
.Lfunc_end179:
	.size	_Z6kernelI26subtract_left_partial_tileLj256ELj32ELb1EJPdPiS1_jEEvDpT3_, .Lfunc_end179-_Z6kernelI26subtract_left_partial_tileLj256ELj32ELb1EJPdPiS1_jEEvDpT3_
                                        ; -- End function
	.section	.AMDGPU.csdata,"",@progbits
; Kernel info:
; codeLenInByte = 2636
; NumSgprs: 18
; NumVgprs: 164
; NumAgprs: 0
; TotalNumVgprs: 164
; ScratchSize: 0
; MemoryBound: 0
; FloatMode: 240
; IeeeMode: 1
; LDSByteSize: 4096 bytes/workgroup (compile time only)
; SGPRBlocks: 2
; VGPRBlocks: 20
; NumSGPRsForWavesPerEU: 18
; NumVGPRsForWavesPerEU: 164
; AccumOffset: 164
; Occupancy: 3
; WaveLimiterHint : 1
; COMPUTE_PGM_RSRC2:SCRATCH_EN: 0
; COMPUTE_PGM_RSRC2:USER_SGPR: 6
; COMPUTE_PGM_RSRC2:TRAP_HANDLER: 0
; COMPUTE_PGM_RSRC2:TGID_X_EN: 1
; COMPUTE_PGM_RSRC2:TGID_Y_EN: 0
; COMPUTE_PGM_RSRC2:TGID_Z_EN: 0
; COMPUTE_PGM_RSRC2:TIDIG_COMP_CNT: 0
; COMPUTE_PGM_RSRC3_GFX90A:ACCUM_OFFSET: 40
; COMPUTE_PGM_RSRC3_GFX90A:TG_SPLIT: 0
	.section	.text._Z6kernelI27subtract_right_partial_tileLj256ELj1ELb0EJPiS1_S1_jEEvDpT3_,"axG",@progbits,_Z6kernelI27subtract_right_partial_tileLj256ELj1ELb0EJPiS1_S1_jEEvDpT3_,comdat
	.protected	_Z6kernelI27subtract_right_partial_tileLj256ELj1ELb0EJPiS1_S1_jEEvDpT3_ ; -- Begin function _Z6kernelI27subtract_right_partial_tileLj256ELj1ELb0EJPiS1_S1_jEEvDpT3_
	.globl	_Z6kernelI27subtract_right_partial_tileLj256ELj1ELb0EJPiS1_S1_jEEvDpT3_
	.p2align	8
	.type	_Z6kernelI27subtract_right_partial_tileLj256ELj1ELb0EJPiS1_S1_jEEvDpT3_,@function
_Z6kernelI27subtract_right_partial_tileLj256ELj1ELb0EJPiS1_S1_jEEvDpT3_: ; @_Z6kernelI27subtract_right_partial_tileLj256ELj1ELb0EJPiS1_S1_jEEvDpT3_
; %bb.0:
	s_load_dwordx4 s[8:11], s[4:5], 0x0
	s_load_dwordx2 s[0:1], s[4:5], 0x10
	s_lshl_b32 s12, s6, 8
	s_mov_b32 s13, 0
	s_lshl_b64 s[2:3], s[12:13], 2
	s_waitcnt lgkmcnt(0)
	s_add_u32 s8, s8, s2
	s_addc_u32 s9, s9, s3
	v_lshlrev_b32_e32 v2, 2, v0
	global_load_dword v1, v2, s[8:9]
	s_load_dword s8, s[4:5], 0x18
	s_mov_b32 s7, s13
	s_lshl_b64 s[4:5], s[6:7], 2
	s_add_u32 s4, s10, s4
	s_addc_u32 s5, s11, s5
	s_waitcnt lgkmcnt(0)
	v_cvt_f32_u32_e32 v3, s8
	s_load_dword s6, s[4:5], 0x0
	s_sub_i32 s4, 0, s8
	v_or_b32_e32 v4, 0x400, v2
	v_rcp_iflag_f32_e32 v3, v3
	v_mul_f32_e32 v3, 0x4f7ffffe, v3
	v_cvt_u32_f32_e32 v3, v3
	v_readfirstlane_b32 s5, v3
	s_mul_i32 s4, s4, s5
	s_mul_hi_u32 s4, s5, s4
	s_add_i32 s5, s5, s4
	s_lshr_b32 s4, s5, 24
	s_mul_i32 s5, s4, s8
	s_sub_i32 s5, 0x100, s5
	s_add_i32 s7, s4, 1
	s_sub_i32 s9, s5, s8
	s_cmp_ge_u32 s5, s8
	s_cselect_b32 s4, s7, s4
	s_cselect_b32 s5, s9, s5
	s_add_i32 s7, s4, 1
	s_cmp_ge_u32 s5, s8
	s_cselect_b32 s7, s7, s4
	s_add_i32 s7, s7, 1
	v_add_u32_e32 v3, 1, v0
	s_max_u32 s8, s8, 1
	s_branch .LBB180_2
.LBB180_1:                              ;   in Loop: Header=BB180_2 Depth=1
	s_or_b64 exec, exec, s[4:5]
	s_add_i32 s4, s7, s6
	s_and_b32 s6, s4, 0xff
	s_add_i32 s8, s8, -1
	v_add_u32_e32 v1, v5, v1
	s_cmp_lg_u32 s8, 0
	s_barrier
	s_cbranch_scc0 .LBB180_4
.LBB180_2:                              ; =>This Inner Loop Header: Depth=1
	s_waitcnt lgkmcnt(0)
	v_cmp_gt_u32_e32 vcc, s6, v3
	s_waitcnt vmcnt(0)
	v_mov_b32_e32 v5, v1
	ds_write_b32 v2, v1 offset:1024
	s_waitcnt lgkmcnt(0)
	s_barrier
	s_and_saveexec_b64 s[4:5], vcc
	s_cbranch_execz .LBB180_1
; %bb.3:                                ;   in Loop: Header=BB180_2 Depth=1
	ds_read_b32 v5, v4 offset:4
	s_waitcnt lgkmcnt(0)
	v_sub_u32_e32 v5, v1, v5
	s_branch .LBB180_1
.LBB180_4:
	s_add_u32 s0, s0, s2
	s_addc_u32 s1, s1, s3
	v_lshlrev_b32_e32 v0, 2, v0
	global_store_dword v0, v1, s[0:1]
	s_endpgm
	.section	.rodata,"a",@progbits
	.p2align	6, 0x0
	.amdhsa_kernel _Z6kernelI27subtract_right_partial_tileLj256ELj1ELb0EJPiS1_S1_jEEvDpT3_
		.amdhsa_group_segment_fixed_size 2048
		.amdhsa_private_segment_fixed_size 0
		.amdhsa_kernarg_size 28
		.amdhsa_user_sgpr_count 6
		.amdhsa_user_sgpr_private_segment_buffer 1
		.amdhsa_user_sgpr_dispatch_ptr 0
		.amdhsa_user_sgpr_queue_ptr 0
		.amdhsa_user_sgpr_kernarg_segment_ptr 1
		.amdhsa_user_sgpr_dispatch_id 0
		.amdhsa_user_sgpr_flat_scratch_init 0
		.amdhsa_user_sgpr_kernarg_preload_length 0
		.amdhsa_user_sgpr_kernarg_preload_offset 0
		.amdhsa_user_sgpr_private_segment_size 0
		.amdhsa_uses_dynamic_stack 0
		.amdhsa_system_sgpr_private_segment_wavefront_offset 0
		.amdhsa_system_sgpr_workgroup_id_x 1
		.amdhsa_system_sgpr_workgroup_id_y 0
		.amdhsa_system_sgpr_workgroup_id_z 0
		.amdhsa_system_sgpr_workgroup_info 0
		.amdhsa_system_vgpr_workitem_id 0
		.amdhsa_next_free_vgpr 6
		.amdhsa_next_free_sgpr 14
		.amdhsa_accum_offset 8
		.amdhsa_reserve_vcc 1
		.amdhsa_reserve_flat_scratch 0
		.amdhsa_float_round_mode_32 0
		.amdhsa_float_round_mode_16_64 0
		.amdhsa_float_denorm_mode_32 3
		.amdhsa_float_denorm_mode_16_64 3
		.amdhsa_dx10_clamp 1
		.amdhsa_ieee_mode 1
		.amdhsa_fp16_overflow 0
		.amdhsa_tg_split 0
		.amdhsa_exception_fp_ieee_invalid_op 0
		.amdhsa_exception_fp_denorm_src 0
		.amdhsa_exception_fp_ieee_div_zero 0
		.amdhsa_exception_fp_ieee_overflow 0
		.amdhsa_exception_fp_ieee_underflow 0
		.amdhsa_exception_fp_ieee_inexact 0
		.amdhsa_exception_int_div_zero 0
	.end_amdhsa_kernel
	.section	.text._Z6kernelI27subtract_right_partial_tileLj256ELj1ELb0EJPiS1_S1_jEEvDpT3_,"axG",@progbits,_Z6kernelI27subtract_right_partial_tileLj256ELj1ELb0EJPiS1_S1_jEEvDpT3_,comdat
.Lfunc_end180:
	.size	_Z6kernelI27subtract_right_partial_tileLj256ELj1ELb0EJPiS1_S1_jEEvDpT3_, .Lfunc_end180-_Z6kernelI27subtract_right_partial_tileLj256ELj1ELb0EJPiS1_S1_jEEvDpT3_
                                        ; -- End function
	.section	.AMDGPU.csdata,"",@progbits
; Kernel info:
; codeLenInByte = 320
; NumSgprs: 18
; NumVgprs: 6
; NumAgprs: 0
; TotalNumVgprs: 6
; ScratchSize: 0
; MemoryBound: 0
; FloatMode: 240
; IeeeMode: 1
; LDSByteSize: 2048 bytes/workgroup (compile time only)
; SGPRBlocks: 2
; VGPRBlocks: 0
; NumSGPRsForWavesPerEU: 18
; NumVGPRsForWavesPerEU: 6
; AccumOffset: 8
; Occupancy: 8
; WaveLimiterHint : 0
; COMPUTE_PGM_RSRC2:SCRATCH_EN: 0
; COMPUTE_PGM_RSRC2:USER_SGPR: 6
; COMPUTE_PGM_RSRC2:TRAP_HANDLER: 0
; COMPUTE_PGM_RSRC2:TGID_X_EN: 1
; COMPUTE_PGM_RSRC2:TGID_Y_EN: 0
; COMPUTE_PGM_RSRC2:TGID_Z_EN: 0
; COMPUTE_PGM_RSRC2:TIDIG_COMP_CNT: 0
; COMPUTE_PGM_RSRC3_GFX90A:ACCUM_OFFSET: 1
; COMPUTE_PGM_RSRC3_GFX90A:TG_SPLIT: 0
	.section	.text._Z6kernelI27subtract_right_partial_tileLj256ELj3ELb0EJPiS1_S1_jEEvDpT3_,"axG",@progbits,_Z6kernelI27subtract_right_partial_tileLj256ELj3ELb0EJPiS1_S1_jEEvDpT3_,comdat
	.protected	_Z6kernelI27subtract_right_partial_tileLj256ELj3ELb0EJPiS1_S1_jEEvDpT3_ ; -- Begin function _Z6kernelI27subtract_right_partial_tileLj256ELj3ELb0EJPiS1_S1_jEEvDpT3_
	.globl	_Z6kernelI27subtract_right_partial_tileLj256ELj3ELb0EJPiS1_S1_jEEvDpT3_
	.p2align	8
	.type	_Z6kernelI27subtract_right_partial_tileLj256ELj3ELb0EJPiS1_S1_jEEvDpT3_,@function
_Z6kernelI27subtract_right_partial_tileLj256ELj3ELb0EJPiS1_S1_jEEvDpT3_: ; @_Z6kernelI27subtract_right_partial_tileLj256ELj3ELb0EJPiS1_S1_jEEvDpT3_
; %bb.0:
	s_load_dwordx4 s[8:11], s[4:5], 0x0
	s_load_dwordx2 s[0:1], s[4:5], 0x10
	s_mul_i32 s12, s6, 0x300
	s_mov_b32 s13, 0
	s_lshl_b64 s[2:3], s[12:13], 2
	s_waitcnt lgkmcnt(0)
	s_add_u32 s8, s8, s2
	s_addc_u32 s9, s9, s3
	v_lshlrev_b32_e32 v4, 2, v0
	global_load_dword v1, v4, s[8:9]
	global_load_dword v2, v4, s[8:9] offset:1024
	global_load_dword v3, v4, s[8:9] offset:2048
	s_load_dword s8, s[4:5], 0x18
	s_mov_b32 s7, s13
	s_lshl_b64 s[4:5], s[6:7], 2
	s_add_u32 s4, s10, s4
	s_addc_u32 s5, s11, s5
	s_waitcnt lgkmcnt(0)
	v_cvt_f32_u32_e32 v5, s8
	s_load_dword s6, s[4:5], 0x0
	s_sub_i32 s4, 0, s8
	v_mad_u32_u24 v6, v0, 3, 2
	v_rcp_iflag_f32_e32 v5, v5
	v_mad_u32_u24 v7, v0, 3, 3
	v_or_b32_e32 v8, 0x400, v4
	v_mul_f32_e32 v5, 0x4f7ffffe, v5
	v_cvt_u32_f32_e32 v5, v5
	v_readfirstlane_b32 s5, v5
	s_mul_i32 s4, s4, s5
	s_mul_hi_u32 s4, s5, s4
	s_add_i32 s5, s5, s4
	s_mul_hi_u32 s4, s5, 0x300
	s_mul_i32 s5, s4, s8
	s_sub_i32 s5, 0x300, s5
	s_add_i32 s7, s4, 1
	s_sub_i32 s9, s5, s8
	s_cmp_ge_u32 s5, s8
	s_cselect_b32 s4, s7, s4
	s_cselect_b32 s5, s9, s5
	s_add_i32 s7, s4, 1
	s_cmp_ge_u32 s5, s8
	s_cselect_b32 s7, s7, s4
	s_add_i32 s7, s7, 1
	v_mad_u32_u24 v5, v0, 3, 1
	s_max_u32 s8, s8, 1
	s_branch .LBB181_2
.LBB181_1:                              ;   in Loop: Header=BB181_2 Depth=1
	s_or_b64 exec, exec, s[4:5]
	s_add_i32 s4, s7, s6
	s_mul_hi_u32 s5, s4, 0xaaaaaaab
	s_lshr_b32 s5, s5, 9
	s_mulk_i32 s5, 0x300
	s_sub_i32 s6, s4, s5
	s_add_i32 s8, s8, -1
	v_add_u32_e32 v1, v9, v1
	v_add_u32_e32 v2, v10, v2
	;; [unrolled: 1-line block ×3, first 2 shown]
	s_cmp_lg_u32 s8, 0
	s_barrier
	s_cbranch_scc0 .LBB181_4
.LBB181_2:                              ; =>This Inner Loop Header: Depth=1
	s_waitcnt vmcnt(1)
	v_sub_u32_e32 v9, v1, v2
	s_waitcnt lgkmcnt(0)
	v_cmp_gt_u32_e32 vcc, s6, v5
	v_cndmask_b32_e32 v9, v1, v9, vcc
	s_waitcnt vmcnt(0)
	v_sub_u32_e32 v10, v2, v3
	v_cmp_gt_u32_e32 vcc, s6, v6
	v_cndmask_b32_e32 v10, v2, v10, vcc
	v_cmp_gt_u32_e32 vcc, s6, v7
	v_mov_b32_e32 v11, v3
	ds_write_b32 v4, v1 offset:1024
	s_waitcnt lgkmcnt(0)
	s_barrier
	s_and_saveexec_b64 s[4:5], vcc
	s_cbranch_execz .LBB181_1
; %bb.3:                                ;   in Loop: Header=BB181_2 Depth=1
	ds_read_b32 v11, v8 offset:4
	s_waitcnt lgkmcnt(0)
	v_sub_u32_e32 v11, v3, v11
	s_branch .LBB181_1
.LBB181_4:
	s_add_u32 s0, s0, s2
	s_addc_u32 s1, s1, s3
	v_lshlrev_b32_e32 v0, 2, v0
	global_store_dword v0, v1, s[0:1]
	global_store_dword v0, v2, s[0:1] offset:1024
	global_store_dword v0, v3, s[0:1] offset:2048
	s_endpgm
	.section	.rodata,"a",@progbits
	.p2align	6, 0x0
	.amdhsa_kernel _Z6kernelI27subtract_right_partial_tileLj256ELj3ELb0EJPiS1_S1_jEEvDpT3_
		.amdhsa_group_segment_fixed_size 2048
		.amdhsa_private_segment_fixed_size 0
		.amdhsa_kernarg_size 28
		.amdhsa_user_sgpr_count 6
		.amdhsa_user_sgpr_private_segment_buffer 1
		.amdhsa_user_sgpr_dispatch_ptr 0
		.amdhsa_user_sgpr_queue_ptr 0
		.amdhsa_user_sgpr_kernarg_segment_ptr 1
		.amdhsa_user_sgpr_dispatch_id 0
		.amdhsa_user_sgpr_flat_scratch_init 0
		.amdhsa_user_sgpr_kernarg_preload_length 0
		.amdhsa_user_sgpr_kernarg_preload_offset 0
		.amdhsa_user_sgpr_private_segment_size 0
		.amdhsa_uses_dynamic_stack 0
		.amdhsa_system_sgpr_private_segment_wavefront_offset 0
		.amdhsa_system_sgpr_workgroup_id_x 1
		.amdhsa_system_sgpr_workgroup_id_y 0
		.amdhsa_system_sgpr_workgroup_id_z 0
		.amdhsa_system_sgpr_workgroup_info 0
		.amdhsa_system_vgpr_workitem_id 0
		.amdhsa_next_free_vgpr 12
		.amdhsa_next_free_sgpr 14
		.amdhsa_accum_offset 12
		.amdhsa_reserve_vcc 1
		.amdhsa_reserve_flat_scratch 0
		.amdhsa_float_round_mode_32 0
		.amdhsa_float_round_mode_16_64 0
		.amdhsa_float_denorm_mode_32 3
		.amdhsa_float_denorm_mode_16_64 3
		.amdhsa_dx10_clamp 1
		.amdhsa_ieee_mode 1
		.amdhsa_fp16_overflow 0
		.amdhsa_tg_split 0
		.amdhsa_exception_fp_ieee_invalid_op 0
		.amdhsa_exception_fp_denorm_src 0
		.amdhsa_exception_fp_ieee_div_zero 0
		.amdhsa_exception_fp_ieee_overflow 0
		.amdhsa_exception_fp_ieee_underflow 0
		.amdhsa_exception_fp_ieee_inexact 0
		.amdhsa_exception_int_div_zero 0
	.end_amdhsa_kernel
	.section	.text._Z6kernelI27subtract_right_partial_tileLj256ELj3ELb0EJPiS1_S1_jEEvDpT3_,"axG",@progbits,_Z6kernelI27subtract_right_partial_tileLj256ELj3ELb0EJPiS1_S1_jEEvDpT3_,comdat
.Lfunc_end181:
	.size	_Z6kernelI27subtract_right_partial_tileLj256ELj3ELb0EJPiS1_S1_jEEvDpT3_, .Lfunc_end181-_Z6kernelI27subtract_right_partial_tileLj256ELj3ELb0EJPiS1_S1_jEEvDpT3_
                                        ; -- End function
	.section	.AMDGPU.csdata,"",@progbits
; Kernel info:
; codeLenInByte = 428
; NumSgprs: 18
; NumVgprs: 12
; NumAgprs: 0
; TotalNumVgprs: 12
; ScratchSize: 0
; MemoryBound: 0
; FloatMode: 240
; IeeeMode: 1
; LDSByteSize: 2048 bytes/workgroup (compile time only)
; SGPRBlocks: 2
; VGPRBlocks: 1
; NumSGPRsForWavesPerEU: 18
; NumVGPRsForWavesPerEU: 12
; AccumOffset: 12
; Occupancy: 8
; WaveLimiterHint : 1
; COMPUTE_PGM_RSRC2:SCRATCH_EN: 0
; COMPUTE_PGM_RSRC2:USER_SGPR: 6
; COMPUTE_PGM_RSRC2:TRAP_HANDLER: 0
; COMPUTE_PGM_RSRC2:TGID_X_EN: 1
; COMPUTE_PGM_RSRC2:TGID_Y_EN: 0
; COMPUTE_PGM_RSRC2:TGID_Z_EN: 0
; COMPUTE_PGM_RSRC2:TIDIG_COMP_CNT: 0
; COMPUTE_PGM_RSRC3_GFX90A:ACCUM_OFFSET: 2
; COMPUTE_PGM_RSRC3_GFX90A:TG_SPLIT: 0
	.section	.text._Z6kernelI27subtract_right_partial_tileLj256ELj4ELb0EJPiS1_S1_jEEvDpT3_,"axG",@progbits,_Z6kernelI27subtract_right_partial_tileLj256ELj4ELb0EJPiS1_S1_jEEvDpT3_,comdat
	.protected	_Z6kernelI27subtract_right_partial_tileLj256ELj4ELb0EJPiS1_S1_jEEvDpT3_ ; -- Begin function _Z6kernelI27subtract_right_partial_tileLj256ELj4ELb0EJPiS1_S1_jEEvDpT3_
	.globl	_Z6kernelI27subtract_right_partial_tileLj256ELj4ELb0EJPiS1_S1_jEEvDpT3_
	.p2align	8
	.type	_Z6kernelI27subtract_right_partial_tileLj256ELj4ELb0EJPiS1_S1_jEEvDpT3_,@function
_Z6kernelI27subtract_right_partial_tileLj256ELj4ELb0EJPiS1_S1_jEEvDpT3_: ; @_Z6kernelI27subtract_right_partial_tileLj256ELj4ELb0EJPiS1_S1_jEEvDpT3_
; %bb.0:
	s_load_dwordx4 s[8:11], s[4:5], 0x0
	s_load_dwordx2 s[0:1], s[4:5], 0x10
	s_lshl_b32 s12, s6, 10
	s_mov_b32 s13, 0
	s_lshl_b64 s[2:3], s[12:13], 2
	s_waitcnt lgkmcnt(0)
	s_add_u32 s8, s8, s2
	s_addc_u32 s9, s9, s3
	v_lshlrev_b32_e32 v5, 2, v0
	global_load_dword v1, v5, s[8:9]
	global_load_dword v2, v5, s[8:9] offset:1024
	global_load_dword v3, v5, s[8:9] offset:2048
	;; [unrolled: 1-line block ×3, first 2 shown]
	s_load_dword s8, s[4:5], 0x18
	s_mov_b32 s7, s13
	s_lshl_b64 s[4:5], s[6:7], 2
	s_add_u32 s4, s10, s4
	s_addc_u32 s5, s11, s5
	s_waitcnt lgkmcnt(0)
	v_cvt_f32_u32_e32 v6, s8
	s_load_dword s6, s[4:5], 0x0
	s_sub_i32 s4, 0, s8
	v_or_b32_e32 v7, 2, v5
	v_rcp_iflag_f32_e32 v6, v6
	v_or_b32_e32 v8, 3, v5
	v_add_u32_e32 v9, 4, v5
	v_or_b32_e32 v10, 0x400, v5
	v_mul_f32_e32 v6, 0x4f7ffffe, v6
	v_cvt_u32_f32_e32 v6, v6
	v_readfirstlane_b32 s5, v6
	s_mul_i32 s4, s4, s5
	s_mul_hi_u32 s4, s5, s4
	s_add_i32 s5, s5, s4
	s_lshr_b32 s4, s5, 22
	s_mul_i32 s5, s4, s8
	s_sub_i32 s5, 0x400, s5
	s_add_i32 s7, s4, 1
	s_sub_i32 s9, s5, s8
	s_cmp_ge_u32 s5, s8
	s_cselect_b32 s4, s7, s4
	s_cselect_b32 s5, s9, s5
	s_add_i32 s7, s4, 1
	s_cmp_ge_u32 s5, s8
	s_cselect_b32 s7, s7, s4
	s_add_i32 s7, s7, 1
	v_or_b32_e32 v6, 1, v5
	s_max_u32 s8, s8, 1
	s_branch .LBB182_2
.LBB182_1:                              ;   in Loop: Header=BB182_2 Depth=1
	s_or_b64 exec, exec, s[4:5]
	s_add_i32 s4, s7, s6
	s_and_b32 s6, s4, 0x3ff
	s_add_i32 s8, s8, -1
	v_add_u32_e32 v1, v11, v1
	v_add_u32_e32 v2, v12, v2
	;; [unrolled: 1-line block ×4, first 2 shown]
	s_cmp_lg_u32 s8, 0
	s_barrier
	s_cbranch_scc0 .LBB182_4
.LBB182_2:                              ; =>This Inner Loop Header: Depth=1
	s_waitcnt vmcnt(2)
	v_sub_u32_e32 v11, v1, v2
	s_waitcnt lgkmcnt(0)
	v_cmp_gt_u32_e32 vcc, s6, v6
	v_cndmask_b32_e32 v11, v1, v11, vcc
	s_waitcnt vmcnt(1)
	v_sub_u32_e32 v12, v2, v3
	v_cmp_gt_u32_e32 vcc, s6, v7
	v_cndmask_b32_e32 v12, v2, v12, vcc
	s_waitcnt vmcnt(0)
	v_sub_u32_e32 v13, v3, v4
	v_cmp_gt_u32_e32 vcc, s6, v8
	v_cndmask_b32_e32 v13, v3, v13, vcc
	v_cmp_gt_u32_e32 vcc, s6, v9
	v_mov_b32_e32 v14, v4
	ds_write_b32 v5, v1 offset:1024
	s_waitcnt lgkmcnt(0)
	s_barrier
	s_and_saveexec_b64 s[4:5], vcc
	s_cbranch_execz .LBB182_1
; %bb.3:                                ;   in Loop: Header=BB182_2 Depth=1
	ds_read_b32 v14, v10 offset:4
	s_waitcnt lgkmcnt(0)
	v_sub_u32_e32 v14, v4, v14
	s_branch .LBB182_1
.LBB182_4:
	s_add_u32 s0, s0, s2
	s_addc_u32 s1, s1, s3
	v_lshlrev_b32_e32 v0, 2, v0
	global_store_dword v0, v1, s[0:1]
	global_store_dword v0, v2, s[0:1] offset:1024
	global_store_dword v0, v3, s[0:1] offset:2048
	global_store_dword v0, v4, s[0:1] offset:3072
	s_endpgm
	.section	.rodata,"a",@progbits
	.p2align	6, 0x0
	.amdhsa_kernel _Z6kernelI27subtract_right_partial_tileLj256ELj4ELb0EJPiS1_S1_jEEvDpT3_
		.amdhsa_group_segment_fixed_size 2048
		.amdhsa_private_segment_fixed_size 0
		.amdhsa_kernarg_size 28
		.amdhsa_user_sgpr_count 6
		.amdhsa_user_sgpr_private_segment_buffer 1
		.amdhsa_user_sgpr_dispatch_ptr 0
		.amdhsa_user_sgpr_queue_ptr 0
		.amdhsa_user_sgpr_kernarg_segment_ptr 1
		.amdhsa_user_sgpr_dispatch_id 0
		.amdhsa_user_sgpr_flat_scratch_init 0
		.amdhsa_user_sgpr_kernarg_preload_length 0
		.amdhsa_user_sgpr_kernarg_preload_offset 0
		.amdhsa_user_sgpr_private_segment_size 0
		.amdhsa_uses_dynamic_stack 0
		.amdhsa_system_sgpr_private_segment_wavefront_offset 0
		.amdhsa_system_sgpr_workgroup_id_x 1
		.amdhsa_system_sgpr_workgroup_id_y 0
		.amdhsa_system_sgpr_workgroup_id_z 0
		.amdhsa_system_sgpr_workgroup_info 0
		.amdhsa_system_vgpr_workitem_id 0
		.amdhsa_next_free_vgpr 15
		.amdhsa_next_free_sgpr 14
		.amdhsa_accum_offset 16
		.amdhsa_reserve_vcc 1
		.amdhsa_reserve_flat_scratch 0
		.amdhsa_float_round_mode_32 0
		.amdhsa_float_round_mode_16_64 0
		.amdhsa_float_denorm_mode_32 3
		.amdhsa_float_denorm_mode_16_64 3
		.amdhsa_dx10_clamp 1
		.amdhsa_ieee_mode 1
		.amdhsa_fp16_overflow 0
		.amdhsa_tg_split 0
		.amdhsa_exception_fp_ieee_invalid_op 0
		.amdhsa_exception_fp_denorm_src 0
		.amdhsa_exception_fp_ieee_div_zero 0
		.amdhsa_exception_fp_ieee_overflow 0
		.amdhsa_exception_fp_ieee_underflow 0
		.amdhsa_exception_fp_ieee_inexact 0
		.amdhsa_exception_int_div_zero 0
	.end_amdhsa_kernel
	.section	.text._Z6kernelI27subtract_right_partial_tileLj256ELj4ELb0EJPiS1_S1_jEEvDpT3_,"axG",@progbits,_Z6kernelI27subtract_right_partial_tileLj256ELj4ELb0EJPiS1_S1_jEEvDpT3_,comdat
.Lfunc_end182:
	.size	_Z6kernelI27subtract_right_partial_tileLj256ELj4ELb0EJPiS1_S1_jEEvDpT3_, .Lfunc_end182-_Z6kernelI27subtract_right_partial_tileLj256ELj4ELb0EJPiS1_S1_jEEvDpT3_
                                        ; -- End function
	.section	.AMDGPU.csdata,"",@progbits
; Kernel info:
; codeLenInByte = 436
; NumSgprs: 18
; NumVgprs: 15
; NumAgprs: 0
; TotalNumVgprs: 15
; ScratchSize: 0
; MemoryBound: 0
; FloatMode: 240
; IeeeMode: 1
; LDSByteSize: 2048 bytes/workgroup (compile time only)
; SGPRBlocks: 2
; VGPRBlocks: 1
; NumSGPRsForWavesPerEU: 18
; NumVGPRsForWavesPerEU: 15
; AccumOffset: 16
; Occupancy: 8
; WaveLimiterHint : 1
; COMPUTE_PGM_RSRC2:SCRATCH_EN: 0
; COMPUTE_PGM_RSRC2:USER_SGPR: 6
; COMPUTE_PGM_RSRC2:TRAP_HANDLER: 0
; COMPUTE_PGM_RSRC2:TGID_X_EN: 1
; COMPUTE_PGM_RSRC2:TGID_Y_EN: 0
; COMPUTE_PGM_RSRC2:TGID_Z_EN: 0
; COMPUTE_PGM_RSRC2:TIDIG_COMP_CNT: 0
; COMPUTE_PGM_RSRC3_GFX90A:ACCUM_OFFSET: 3
; COMPUTE_PGM_RSRC3_GFX90A:TG_SPLIT: 0
	.section	.text._Z6kernelI27subtract_right_partial_tileLj256ELj8ELb0EJPiS1_S1_jEEvDpT3_,"axG",@progbits,_Z6kernelI27subtract_right_partial_tileLj256ELj8ELb0EJPiS1_S1_jEEvDpT3_,comdat
	.protected	_Z6kernelI27subtract_right_partial_tileLj256ELj8ELb0EJPiS1_S1_jEEvDpT3_ ; -- Begin function _Z6kernelI27subtract_right_partial_tileLj256ELj8ELb0EJPiS1_S1_jEEvDpT3_
	.globl	_Z6kernelI27subtract_right_partial_tileLj256ELj8ELb0EJPiS1_S1_jEEvDpT3_
	.p2align	8
	.type	_Z6kernelI27subtract_right_partial_tileLj256ELj8ELb0EJPiS1_S1_jEEvDpT3_,@function
_Z6kernelI27subtract_right_partial_tileLj256ELj8ELb0EJPiS1_S1_jEEvDpT3_: ; @_Z6kernelI27subtract_right_partial_tileLj256ELj8ELb0EJPiS1_S1_jEEvDpT3_
; %bb.0:
	s_load_dwordx4 s[0:3], s[4:5], 0x0
	s_load_dwordx2 s[8:9], s[4:5], 0x10
	s_lshl_b32 s12, s6, 11
	s_mov_b32 s13, 0
	s_lshl_b64 s[10:11], s[12:13], 2
	s_waitcnt lgkmcnt(0)
	s_add_u32 s0, s0, s10
	s_addc_u32 s1, s1, s11
	v_lshlrev_b32_e32 v9, 2, v0
	v_mov_b32_e32 v1, s1
	v_add_co_u32_e32 v5, vcc, s0, v9
	v_addc_co_u32_e32 v6, vcc, 0, v1, vcc
	global_load_dword v1, v9, s[0:1]
	global_load_dword v2, v9, s[0:1] offset:1024
	global_load_dword v3, v9, s[0:1] offset:2048
	;; [unrolled: 1-line block ×3, first 2 shown]
	s_movk_i32 s0, 0x1000
	v_add_co_u32_e32 v10, vcc, s0, v5
	v_addc_co_u32_e32 v11, vcc, 0, v6, vcc
	global_load_dword v5, v[10:11], off
	global_load_dword v6, v[10:11], off offset:1024
	global_load_dword v7, v[10:11], off offset:2048
	;; [unrolled: 1-line block ×3, first 2 shown]
	s_load_dword s4, s[4:5], 0x18
	s_mov_b32 s7, s13
	s_lshl_b64 s[0:1], s[6:7], 2
	s_add_u32 s0, s2, s0
	s_addc_u32 s1, s3, s1
	s_waitcnt lgkmcnt(0)
	v_cvt_f32_u32_e32 v10, s4
	s_load_dword s2, s[0:1], 0x0
	s_sub_i32 s0, 0, s4
	v_lshlrev_b32_e32 v17, 3, v0
	v_rcp_iflag_f32_e32 v10, v10
	v_or_b32_e32 v11, 2, v17
	v_or_b32_e32 v12, 3, v17
	;; [unrolled: 1-line block ×3, first 2 shown]
	v_mul_f32_e32 v10, 0x4f7ffffe, v10
	v_cvt_u32_f32_e32 v10, v10
	v_or_b32_e32 v14, 5, v17
	v_or_b32_e32 v15, 6, v17
	;; [unrolled: 1-line block ×3, first 2 shown]
	v_readfirstlane_b32 s1, v10
	s_mul_i32 s0, s0, s1
	s_mul_hi_u32 s0, s1, s0
	s_add_i32 s1, s1, s0
	s_lshr_b32 s0, s1, 21
	s_mul_i32 s1, s0, s4
	s_sub_i32 s1, 0x800, s1
	s_add_i32 s3, s0, 1
	s_sub_i32 s5, s1, s4
	s_cmp_ge_u32 s1, s4
	s_cselect_b32 s0, s3, s0
	s_cselect_b32 s1, s5, s1
	s_add_i32 s3, s0, 1
	s_cmp_ge_u32 s1, s4
	s_cselect_b32 s3, s3, s0
	s_add_i32 s3, s3, 1
	v_or_b32_e32 v10, 1, v17
	v_add_u32_e32 v17, 8, v17
	v_or_b32_e32 v18, 0x400, v9
	s_max_u32 s4, s4, 1
	s_branch .LBB183_2
.LBB183_1:                              ;   in Loop: Header=BB183_2 Depth=1
	s_or_b64 exec, exec, s[0:1]
	v_cmp_gt_u32_e32 vcc, s2, v10
	v_cndmask_b32_e32 v20, 0, v2, vcc
	v_cmp_gt_u32_e32 vcc, s2, v11
	v_cndmask_b32_e32 v21, 0, v3, vcc
	;; [unrolled: 2-line block ×7, first 2 shown]
	s_add_i32 s0, s3, s2
	v_sub_u32_e32 v20, v1, v20
	v_sub_u32_e32 v21, v2, v21
	;; [unrolled: 1-line block ×7, first 2 shown]
	s_and_b32 s2, s0, 0x7ff
	s_add_i32 s4, s4, -1
	v_add_u32_e32 v1, v20, v1
	v_add_u32_e32 v2, v21, v2
	;; [unrolled: 1-line block ×8, first 2 shown]
	s_cmp_lg_u32 s4, 0
	s_barrier
	s_cbranch_scc0 .LBB183_4
.LBB183_2:                              ; =>This Inner Loop Header: Depth=1
	s_waitcnt lgkmcnt(0)
	v_cmp_gt_u32_e32 vcc, s2, v17
	s_waitcnt vmcnt(0)
	v_mov_b32_e32 v19, v8
	ds_write_b32 v9, v1 offset:1024
	s_waitcnt lgkmcnt(0)
	s_barrier
	s_and_saveexec_b64 s[0:1], vcc
	s_cbranch_execz .LBB183_1
; %bb.3:                                ;   in Loop: Header=BB183_2 Depth=1
	ds_read_b32 v19, v18 offset:4
	s_waitcnt lgkmcnt(0)
	v_sub_u32_e32 v19, v8, v19
	s_branch .LBB183_1
.LBB183_4:
	s_add_u32 s0, s8, s10
	s_addc_u32 s1, s9, s11
	v_lshlrev_b32_e32 v0, 2, v0
	v_mov_b32_e32 v9, s1
	v_add_co_u32_e32 v10, vcc, s0, v0
	v_addc_co_u32_e32 v9, vcc, 0, v9, vcc
	global_store_dword v0, v1, s[0:1]
	global_store_dword v0, v2, s[0:1] offset:1024
	global_store_dword v0, v3, s[0:1] offset:2048
	;; [unrolled: 1-line block ×3, first 2 shown]
	v_add_co_u32_e32 v0, vcc, 0x1000, v10
	v_addc_co_u32_e32 v1, vcc, 0, v9, vcc
	global_store_dword v[0:1], v5, off
	global_store_dword v[0:1], v6, off offset:1024
	global_store_dword v[0:1], v7, off offset:2048
	;; [unrolled: 1-line block ×3, first 2 shown]
	s_endpgm
	.section	.rodata,"a",@progbits
	.p2align	6, 0x0
	.amdhsa_kernel _Z6kernelI27subtract_right_partial_tileLj256ELj8ELb0EJPiS1_S1_jEEvDpT3_
		.amdhsa_group_segment_fixed_size 2048
		.amdhsa_private_segment_fixed_size 0
		.amdhsa_kernarg_size 28
		.amdhsa_user_sgpr_count 6
		.amdhsa_user_sgpr_private_segment_buffer 1
		.amdhsa_user_sgpr_dispatch_ptr 0
		.amdhsa_user_sgpr_queue_ptr 0
		.amdhsa_user_sgpr_kernarg_segment_ptr 1
		.amdhsa_user_sgpr_dispatch_id 0
		.amdhsa_user_sgpr_flat_scratch_init 0
		.amdhsa_user_sgpr_kernarg_preload_length 0
		.amdhsa_user_sgpr_kernarg_preload_offset 0
		.amdhsa_user_sgpr_private_segment_size 0
		.amdhsa_uses_dynamic_stack 0
		.amdhsa_system_sgpr_private_segment_wavefront_offset 0
		.amdhsa_system_sgpr_workgroup_id_x 1
		.amdhsa_system_sgpr_workgroup_id_y 0
		.amdhsa_system_sgpr_workgroup_id_z 0
		.amdhsa_system_sgpr_workgroup_info 0
		.amdhsa_system_vgpr_workitem_id 0
		.amdhsa_next_free_vgpr 27
		.amdhsa_next_free_sgpr 14
		.amdhsa_accum_offset 28
		.amdhsa_reserve_vcc 1
		.amdhsa_reserve_flat_scratch 0
		.amdhsa_float_round_mode_32 0
		.amdhsa_float_round_mode_16_64 0
		.amdhsa_float_denorm_mode_32 3
		.amdhsa_float_denorm_mode_16_64 3
		.amdhsa_dx10_clamp 1
		.amdhsa_ieee_mode 1
		.amdhsa_fp16_overflow 0
		.amdhsa_tg_split 0
		.amdhsa_exception_fp_ieee_invalid_op 0
		.amdhsa_exception_fp_denorm_src 0
		.amdhsa_exception_fp_ieee_div_zero 0
		.amdhsa_exception_fp_ieee_overflow 0
		.amdhsa_exception_fp_ieee_underflow 0
		.amdhsa_exception_fp_ieee_inexact 0
		.amdhsa_exception_int_div_zero 0
	.end_amdhsa_kernel
	.section	.text._Z6kernelI27subtract_right_partial_tileLj256ELj8ELb0EJPiS1_S1_jEEvDpT3_,"axG",@progbits,_Z6kernelI27subtract_right_partial_tileLj256ELj8ELb0EJPiS1_S1_jEEvDpT3_,comdat
.Lfunc_end183:
	.size	_Z6kernelI27subtract_right_partial_tileLj256ELj8ELb0EJPiS1_S1_jEEvDpT3_, .Lfunc_end183-_Z6kernelI27subtract_right_partial_tileLj256ELj8ELb0EJPiS1_S1_jEEvDpT3_
                                        ; -- End function
	.section	.AMDGPU.csdata,"",@progbits
; Kernel info:
; codeLenInByte = 624
; NumSgprs: 18
; NumVgprs: 27
; NumAgprs: 0
; TotalNumVgprs: 27
; ScratchSize: 0
; MemoryBound: 0
; FloatMode: 240
; IeeeMode: 1
; LDSByteSize: 2048 bytes/workgroup (compile time only)
; SGPRBlocks: 2
; VGPRBlocks: 3
; NumSGPRsForWavesPerEU: 18
; NumVGPRsForWavesPerEU: 27
; AccumOffset: 28
; Occupancy: 8
; WaveLimiterHint : 1
; COMPUTE_PGM_RSRC2:SCRATCH_EN: 0
; COMPUTE_PGM_RSRC2:USER_SGPR: 6
; COMPUTE_PGM_RSRC2:TRAP_HANDLER: 0
; COMPUTE_PGM_RSRC2:TGID_X_EN: 1
; COMPUTE_PGM_RSRC2:TGID_Y_EN: 0
; COMPUTE_PGM_RSRC2:TGID_Z_EN: 0
; COMPUTE_PGM_RSRC2:TIDIG_COMP_CNT: 0
; COMPUTE_PGM_RSRC3_GFX90A:ACCUM_OFFSET: 6
; COMPUTE_PGM_RSRC3_GFX90A:TG_SPLIT: 0
	.section	.text._Z6kernelI27subtract_right_partial_tileLj256ELj16ELb0EJPiS1_S1_jEEvDpT3_,"axG",@progbits,_Z6kernelI27subtract_right_partial_tileLj256ELj16ELb0EJPiS1_S1_jEEvDpT3_,comdat
	.protected	_Z6kernelI27subtract_right_partial_tileLj256ELj16ELb0EJPiS1_S1_jEEvDpT3_ ; -- Begin function _Z6kernelI27subtract_right_partial_tileLj256ELj16ELb0EJPiS1_S1_jEEvDpT3_
	.globl	_Z6kernelI27subtract_right_partial_tileLj256ELj16ELb0EJPiS1_S1_jEEvDpT3_
	.p2align	8
	.type	_Z6kernelI27subtract_right_partial_tileLj256ELj16ELb0EJPiS1_S1_jEEvDpT3_,@function
_Z6kernelI27subtract_right_partial_tileLj256ELj16ELb0EJPiS1_S1_jEEvDpT3_: ; @_Z6kernelI27subtract_right_partial_tileLj256ELj16ELb0EJPiS1_S1_jEEvDpT3_
; %bb.0:
	s_load_dwordx4 s[0:3], s[4:5], 0x0
	s_load_dwordx2 s[8:9], s[4:5], 0x10
	s_lshl_b32 s12, s6, 12
	s_mov_b32 s13, 0
	s_lshl_b64 s[10:11], s[12:13], 2
	s_waitcnt lgkmcnt(0)
	s_add_u32 s0, s0, s10
	s_addc_u32 s1, s1, s11
	v_lshlrev_b32_e32 v13, 2, v0
	v_mov_b32_e32 v1, s1
	v_add_co_u32_e32 v9, vcc, s0, v13
	v_addc_co_u32_e32 v12, vcc, 0, v1, vcc
	global_load_dword v4, v13, s[0:1]
	global_load_dword v3, v13, s[0:1] offset:1024
	global_load_dword v2, v13, s[0:1] offset:2048
	;; [unrolled: 1-line block ×3, first 2 shown]
	s_movk_i32 s0, 0x1000
	v_add_co_u32_e32 v18, vcc, s0, v9
	v_addc_co_u32_e32 v19, vcc, 0, v12, vcc
	s_movk_i32 s0, 0x2000
	v_add_co_u32_e32 v10, vcc, s0, v9
	v_addc_co_u32_e32 v11, vcc, 0, v12, vcc
	s_movk_i32 s0, 0x3000
	v_add_co_u32_e32 v20, vcc, s0, v9
	global_load_dword v14, v[10:11], off offset:-4096
	global_load_dword v8, v[10:11], off
	global_load_dword v7, v[10:11], off offset:1024
	global_load_dword v6, v[10:11], off offset:2048
	;; [unrolled: 1-line block ×3, first 2 shown]
	v_addc_co_u32_e32 v21, vcc, 0, v12, vcc
	global_load_dword v17, v[18:19], off offset:1024
	global_load_dword v16, v[18:19], off offset:2048
	global_load_dword v15, v[18:19], off offset:3072
	global_load_dword v12, v[20:21], off
	global_load_dword v11, v[20:21], off offset:1024
	global_load_dword v10, v[20:21], off offset:2048
	;; [unrolled: 1-line block ×3, first 2 shown]
	s_load_dword s4, s[4:5], 0x18
	s_mov_b32 s7, s13
	s_lshl_b64 s[0:1], s[6:7], 2
	s_add_u32 s0, s2, s0
	s_addc_u32 s1, s3, s1
	s_waitcnt lgkmcnt(0)
	v_cvt_f32_u32_e32 v18, s4
	s_load_dword s2, s[0:1], 0x0
	s_sub_i32 s0, 0, s4
	v_lshlrev_b32_e32 v33, 4, v0
	v_rcp_iflag_f32_e32 v18, v18
	v_or_b32_e32 v19, 2, v33
	v_or_b32_e32 v20, 3, v33
	;; [unrolled: 1-line block ×3, first 2 shown]
	v_mul_f32_e32 v18, 0x4f7ffffe, v18
	v_cvt_u32_f32_e32 v18, v18
	v_or_b32_e32 v22, 5, v33
	v_or_b32_e32 v23, 6, v33
	;; [unrolled: 1-line block ×3, first 2 shown]
	v_readfirstlane_b32 s1, v18
	s_mul_i32 s0, s0, s1
	s_mul_hi_u32 s0, s1, s0
	s_add_i32 s1, s1, s0
	s_lshr_b32 s0, s1, 20
	s_mul_i32 s1, s0, s4
	s_sub_i32 s1, 0x1000, s1
	s_add_i32 s3, s0, 1
	s_sub_i32 s5, s1, s4
	s_cmp_ge_u32 s1, s4
	s_cselect_b32 s0, s3, s0
	s_cselect_b32 s1, s5, s1
	s_add_i32 s3, s0, 1
	s_cmp_ge_u32 s1, s4
	s_cselect_b32 s3, s3, s0
	s_add_i32 s3, s3, 1
	v_or_b32_e32 v18, 1, v33
	v_or_b32_e32 v25, 8, v33
	;; [unrolled: 1-line block ×9, first 2 shown]
	v_add_u32_e32 v33, 16, v33
	v_or_b32_e32 v34, 0x400, v13
	s_max_u32 s4, s4, 1
	s_branch .LBB184_2
.LBB184_1:                              ;   in Loop: Header=BB184_2 Depth=1
	s_or_b64 exec, exec, s[0:1]
	v_cmp_gt_u32_e32 vcc, s2, v18
	v_cndmask_b32_e32 v36, 0, v3, vcc
	v_cmp_gt_u32_e32 vcc, s2, v19
	v_cndmask_b32_e32 v37, 0, v2, vcc
	;; [unrolled: 2-line block ×15, first 2 shown]
	s_add_i32 s0, s3, s2
	v_sub_u32_e32 v36, v4, v36
	v_sub_u32_e32 v37, v3, v37
	;; [unrolled: 1-line block ×15, first 2 shown]
	s_and_b32 s2, s0, 0xfff
	s_add_i32 s4, s4, -1
	v_add_u32_e32 v4, v36, v4
	v_add_u32_e32 v3, v37, v3
	;; [unrolled: 1-line block ×16, first 2 shown]
	s_cmp_lg_u32 s4, 0
	s_barrier
	s_cbranch_scc0 .LBB184_4
.LBB184_2:                              ; =>This Inner Loop Header: Depth=1
	s_waitcnt lgkmcnt(0)
	v_cmp_gt_u32_e32 vcc, s2, v33
	s_waitcnt vmcnt(0)
	v_mov_b32_e32 v35, v9
	ds_write_b32 v13, v4 offset:1024
	s_waitcnt lgkmcnt(0)
	s_barrier
	s_and_saveexec_b64 s[0:1], vcc
	s_cbranch_execz .LBB184_1
; %bb.3:                                ;   in Loop: Header=BB184_2 Depth=1
	ds_read_b32 v35, v34 offset:4
	s_waitcnt lgkmcnt(0)
	v_sub_u32_e32 v35, v9, v35
	s_branch .LBB184_1
.LBB184_4:
	s_add_u32 s0, s8, s10
	s_addc_u32 s1, s9, s11
	v_lshlrev_b32_e32 v0, 2, v0
	v_mov_b32_e32 v13, s1
	v_add_co_u32_e32 v18, vcc, s0, v0
	v_addc_co_u32_e32 v13, vcc, 0, v13, vcc
	global_store_dword v0, v4, s[0:1]
	global_store_dword v0, v3, s[0:1] offset:1024
	global_store_dword v0, v2, s[0:1] offset:2048
	;; [unrolled: 1-line block ×3, first 2 shown]
	v_add_co_u32_e32 v0, vcc, 0x1000, v18
	v_addc_co_u32_e32 v1, vcc, 0, v13, vcc
	global_store_dword v[0:1], v14, off
	global_store_dword v[0:1], v17, off offset:1024
	global_store_dword v[0:1], v16, off offset:2048
	global_store_dword v[0:1], v15, off offset:3072
	v_add_co_u32_e32 v0, vcc, 0x2000, v18
	v_addc_co_u32_e32 v1, vcc, 0, v13, vcc
	global_store_dword v[0:1], v8, off
	global_store_dword v[0:1], v7, off offset:1024
	global_store_dword v[0:1], v6, off offset:2048
	global_store_dword v[0:1], v5, off offset:3072
	v_add_co_u32_e32 v0, vcc, 0x3000, v18
	v_addc_co_u32_e32 v1, vcc, 0, v13, vcc
	global_store_dword v[0:1], v12, off
	global_store_dword v[0:1], v11, off offset:1024
	global_store_dword v[0:1], v10, off offset:2048
	global_store_dword v[0:1], v9, off offset:3072
	s_endpgm
	.section	.rodata,"a",@progbits
	.p2align	6, 0x0
	.amdhsa_kernel _Z6kernelI27subtract_right_partial_tileLj256ELj16ELb0EJPiS1_S1_jEEvDpT3_
		.amdhsa_group_segment_fixed_size 2048
		.amdhsa_private_segment_fixed_size 0
		.amdhsa_kernarg_size 28
		.amdhsa_user_sgpr_count 6
		.amdhsa_user_sgpr_private_segment_buffer 1
		.amdhsa_user_sgpr_dispatch_ptr 0
		.amdhsa_user_sgpr_queue_ptr 0
		.amdhsa_user_sgpr_kernarg_segment_ptr 1
		.amdhsa_user_sgpr_dispatch_id 0
		.amdhsa_user_sgpr_flat_scratch_init 0
		.amdhsa_user_sgpr_kernarg_preload_length 0
		.amdhsa_user_sgpr_kernarg_preload_offset 0
		.amdhsa_user_sgpr_private_segment_size 0
		.amdhsa_uses_dynamic_stack 0
		.amdhsa_system_sgpr_private_segment_wavefront_offset 0
		.amdhsa_system_sgpr_workgroup_id_x 1
		.amdhsa_system_sgpr_workgroup_id_y 0
		.amdhsa_system_sgpr_workgroup_id_z 0
		.amdhsa_system_sgpr_workgroup_info 0
		.amdhsa_system_vgpr_workitem_id 0
		.amdhsa_next_free_vgpr 51
		.amdhsa_next_free_sgpr 14
		.amdhsa_accum_offset 52
		.amdhsa_reserve_vcc 1
		.amdhsa_reserve_flat_scratch 0
		.amdhsa_float_round_mode_32 0
		.amdhsa_float_round_mode_16_64 0
		.amdhsa_float_denorm_mode_32 3
		.amdhsa_float_denorm_mode_16_64 3
		.amdhsa_dx10_clamp 1
		.amdhsa_ieee_mode 1
		.amdhsa_fp16_overflow 0
		.amdhsa_tg_split 0
		.amdhsa_exception_fp_ieee_invalid_op 0
		.amdhsa_exception_fp_denorm_src 0
		.amdhsa_exception_fp_ieee_div_zero 0
		.amdhsa_exception_fp_ieee_overflow 0
		.amdhsa_exception_fp_ieee_underflow 0
		.amdhsa_exception_fp_ieee_inexact 0
		.amdhsa_exception_int_div_zero 0
	.end_amdhsa_kernel
	.section	.text._Z6kernelI27subtract_right_partial_tileLj256ELj16ELb0EJPiS1_S1_jEEvDpT3_,"axG",@progbits,_Z6kernelI27subtract_right_partial_tileLj256ELj16ELb0EJPiS1_S1_jEEvDpT3_,comdat
.Lfunc_end184:
	.size	_Z6kernelI27subtract_right_partial_tileLj256ELj16ELb0EJPiS1_S1_jEEvDpT3_, .Lfunc_end184-_Z6kernelI27subtract_right_partial_tileLj256ELj16ELb0EJPiS1_S1_jEEvDpT3_
                                        ; -- End function
	.section	.AMDGPU.csdata,"",@progbits
; Kernel info:
; codeLenInByte = 960
; NumSgprs: 18
; NumVgprs: 51
; NumAgprs: 0
; TotalNumVgprs: 51
; ScratchSize: 0
; MemoryBound: 0
; FloatMode: 240
; IeeeMode: 1
; LDSByteSize: 2048 bytes/workgroup (compile time only)
; SGPRBlocks: 2
; VGPRBlocks: 6
; NumSGPRsForWavesPerEU: 18
; NumVGPRsForWavesPerEU: 51
; AccumOffset: 52
; Occupancy: 8
; WaveLimiterHint : 1
; COMPUTE_PGM_RSRC2:SCRATCH_EN: 0
; COMPUTE_PGM_RSRC2:USER_SGPR: 6
; COMPUTE_PGM_RSRC2:TRAP_HANDLER: 0
; COMPUTE_PGM_RSRC2:TGID_X_EN: 1
; COMPUTE_PGM_RSRC2:TGID_Y_EN: 0
; COMPUTE_PGM_RSRC2:TGID_Z_EN: 0
; COMPUTE_PGM_RSRC2:TIDIG_COMP_CNT: 0
; COMPUTE_PGM_RSRC3_GFX90A:ACCUM_OFFSET: 12
; COMPUTE_PGM_RSRC3_GFX90A:TG_SPLIT: 0
	.section	.text._Z6kernelI27subtract_right_partial_tileLj256ELj32ELb0EJPiS1_S1_jEEvDpT3_,"axG",@progbits,_Z6kernelI27subtract_right_partial_tileLj256ELj32ELb0EJPiS1_S1_jEEvDpT3_,comdat
	.protected	_Z6kernelI27subtract_right_partial_tileLj256ELj32ELb0EJPiS1_S1_jEEvDpT3_ ; -- Begin function _Z6kernelI27subtract_right_partial_tileLj256ELj32ELb0EJPiS1_S1_jEEvDpT3_
	.globl	_Z6kernelI27subtract_right_partial_tileLj256ELj32ELb0EJPiS1_S1_jEEvDpT3_
	.p2align	8
	.type	_Z6kernelI27subtract_right_partial_tileLj256ELj32ELb0EJPiS1_S1_jEEvDpT3_,@function
_Z6kernelI27subtract_right_partial_tileLj256ELj32ELb0EJPiS1_S1_jEEvDpT3_: ; @_Z6kernelI27subtract_right_partial_tileLj256ELj32ELb0EJPiS1_S1_jEEvDpT3_
; %bb.0:
	s_load_dwordx4 s[0:3], s[4:5], 0x0
	s_load_dwordx2 s[8:9], s[4:5], 0x10
	s_lshl_b32 s12, s6, 13
	s_mov_b32 s13, 0
	s_lshl_b64 s[10:11], s[12:13], 2
	s_waitcnt lgkmcnt(0)
	s_add_u32 s0, s0, s10
	s_addc_u32 s1, s1, s11
	v_lshlrev_b32_e32 v3, 2, v0
	v_mov_b32_e32 v1, s1
	v_add_co_u32_e32 v29, vcc, s0, v3
	v_addc_co_u32_e32 v37, vcc, 0, v1, vcc
	s_movk_i32 s7, 0x1000
	v_add_co_u32_e32 v22, vcc, s7, v29
	v_addc_co_u32_e32 v23, vcc, 0, v37, vcc
	s_movk_i32 s7, 0x2000
	;; [unrolled: 3-line block ×6, first 2 shown]
	v_add_co_u32_e32 v32, vcc, s7, v29
	global_load_dword v15, v[10:11], off offset:-4096
	global_load_dword v8, v[10:11], off
	global_load_dword v7, v[10:11], off offset:1024
	global_load_dword v6, v[10:11], off offset:2048
	global_load_dword v5, v[10:11], off offset:3072
	global_load_dword v4, v[30:31], off offset:-4096
	global_load_dword v2, v[30:31], off
	global_load_dword v1, v[30:31], off offset:1024
	v_addc_co_u32_e32 v33, vcc, 0, v37, vcc
	global_load_dword v28, v[22:23], off offset:1024
	global_load_dword v27, v[22:23], off offset:2048
	;; [unrolled: 1-line block ×10, first 2 shown]
	global_load_dword v16, v[32:33], off offset:-4096
	global_load_dword v12, v[32:33], off
	global_load_dword v11, v[32:33], off offset:1024
	global_load_dword v10, v[32:33], off offset:2048
	;; [unrolled: 1-line block ×3, first 2 shown]
	s_movk_i32 s7, 0x7000
	v_add_co_u32_e32 v36, vcc, s7, v29
	v_addc_co_u32_e32 v37, vcc, 0, v37, vcc
	global_load_dword v29, v[34:35], off offset:3072
	global_load_dword v25, v[36:37], off
	global_load_dword v24, v[36:37], off offset:1024
	global_load_dword v23, v[36:37], off offset:2048
	;; [unrolled: 1-line block ×3, first 2 shown]
	global_load_dword v33, v3, s[0:1]
	global_load_dword v32, v3, s[0:1] offset:1024
	global_load_dword v31, v3, s[0:1] offset:2048
	;; [unrolled: 1-line block ×3, first 2 shown]
	s_load_dword s4, s[4:5], 0x18
	s_mov_b32 s7, s13
	s_lshl_b64 s[0:1], s[6:7], 2
	s_add_u32 s0, s2, s0
	s_addc_u32 s1, s3, s1
	s_waitcnt lgkmcnt(0)
	v_cvt_f32_u32_e32 v34, s4
	s_load_dword s2, s[0:1], 0x0
	s_sub_i32 s0, 0, s4
	v_lshlrev_b32_e32 v65, 5, v0
	v_rcp_iflag_f32_e32 v34, v34
	v_or_b32_e32 v35, 2, v65
	v_or_b32_e32 v36, 3, v65
	;; [unrolled: 1-line block ×3, first 2 shown]
	v_mul_f32_e32 v34, 0x4f7ffffe, v34
	v_cvt_u32_f32_e32 v34, v34
	v_or_b32_e32 v38, 5, v65
	v_or_b32_e32 v39, 6, v65
	v_or_b32_e32 v40, 7, v65
	v_readfirstlane_b32 s1, v34
	s_mul_i32 s0, s0, s1
	s_mul_hi_u32 s0, s1, s0
	s_add_i32 s1, s1, s0
	s_lshr_b32 s0, s1, 19
	s_mul_i32 s1, s0, s4
	s_sub_i32 s1, 0x2000, s1
	s_add_i32 s3, s0, 1
	s_sub_i32 s5, s1, s4
	s_cmp_ge_u32 s1, s4
	s_cselect_b32 s0, s3, s0
	s_cselect_b32 s1, s5, s1
	s_add_i32 s3, s0, 1
	s_cmp_ge_u32 s1, s4
	s_cselect_b32 s3, s3, s0
	s_add_i32 s3, s3, 1
	v_or_b32_e32 v34, 1, v65
	v_or_b32_e32 v41, 8, v65
	;; [unrolled: 1-line block ×25, first 2 shown]
	v_add_u32_e32 v65, 32, v65
	s_max_u32 s4, s4, 1
	v_or_b32_e32 v66, 0x400, v3
	s_branch .LBB185_2
.LBB185_1:                              ;   in Loop: Header=BB185_2 Depth=1
	s_or_b64 exec, exec, s[0:1]
	v_cmp_gt_u32_e32 vcc, s2, v34
	s_waitcnt vmcnt(2)
	v_cndmask_b32_e32 v68, 0, v32, vcc
	v_sub_u32_e32 v68, v33, v68
	v_cmp_gt_u32_e32 vcc, s2, v35
	v_add_u32_e32 v33, v68, v33
	s_waitcnt vmcnt(1)
	v_cndmask_b32_e32 v68, 0, v31, vcc
	v_sub_u32_e32 v68, v32, v68
	v_cmp_gt_u32_e32 vcc, s2, v36
	v_add_u32_e32 v32, v68, v32
	;; [unrolled: 5-line block ×3, first 2 shown]
	v_cndmask_b32_e32 v68, 0, v15, vcc
	v_sub_u32_e32 v68, v30, v68
	v_cmp_gt_u32_e32 vcc, s2, v38
	v_add_u32_e32 v30, v68, v30
	v_cndmask_b32_e32 v68, 0, v28, vcc
	v_sub_u32_e32 v68, v15, v68
	v_cmp_gt_u32_e32 vcc, s2, v39
	v_add_u32_e32 v15, v68, v15
	;; [unrolled: 4-line block ×27, first 2 shown]
	v_cndmask_b32_e32 v68, 0, v22, vcc
	s_add_i32 s0, s3, s2
	v_sub_u32_e32 v68, v23, v68
	s_and_b32 s2, s0, 0x1fff
	s_add_i32 s4, s4, -1
	v_add_u32_e32 v23, v68, v23
	v_add_u32_e32 v22, v67, v22
	s_cmp_lg_u32 s4, 0
	s_barrier
	s_cbranch_scc0 .LBB185_4
.LBB185_2:                              ; =>This Inner Loop Header: Depth=1
	s_waitcnt lgkmcnt(0)
	v_cmp_gt_u32_e32 vcc, s2, v65
	s_waitcnt vmcnt(4)
	v_mov_b32_e32 v67, v22
	s_waitcnt vmcnt(3)
	ds_write_b32 v3, v33 offset:1024
	s_waitcnt lgkmcnt(0)
	s_barrier
	s_and_saveexec_b64 s[0:1], vcc
	s_cbranch_execz .LBB185_1
; %bb.3:                                ;   in Loop: Header=BB185_2 Depth=1
	ds_read_b32 v67, v66 offset:4
	s_waitcnt lgkmcnt(0)
	v_sub_u32_e32 v67, v22, v67
	s_branch .LBB185_1
.LBB185_4:
	s_add_u32 s0, s8, s10
	s_addc_u32 s1, s9, s11
	v_lshlrev_b32_e32 v0, 2, v0
	v_mov_b32_e32 v3, s1
	v_add_co_u32_e32 v34, vcc, s0, v0
	v_addc_co_u32_e32 v3, vcc, 0, v3, vcc
	global_store_dword v0, v33, s[0:1]
	global_store_dword v0, v32, s[0:1] offset:1024
	global_store_dword v0, v31, s[0:1] offset:2048
	;; [unrolled: 1-line block ×3, first 2 shown]
	v_add_co_u32_e32 v30, vcc, 0x1000, v34
	v_addc_co_u32_e32 v31, vcc, 0, v3, vcc
	global_store_dword v[30:31], v15, off
	global_store_dword v[30:31], v28, off offset:1024
	global_store_dword v[30:31], v27, off offset:2048
	global_store_dword v[30:31], v26, off offset:3072
	v_add_co_u32_e32 v26, vcc, 0x2000, v34
	v_addc_co_u32_e32 v27, vcc, 0, v3, vcc
	global_store_dword v[26:27], v8, off
	global_store_dword v[26:27], v7, off offset:1024
	global_store_dword v[26:27], v6, off offset:2048
	global_store_dword v[26:27], v5, off offset:3072
	;; [unrolled: 6-line block ×3, first 2 shown]
	v_add_co_u32_e32 v4, vcc, 0x4000, v34
	v_addc_co_u32_e32 v5, vcc, 0, v3, vcc
	v_add_co_u32_e32 v0, vcc, 0x5000, v34
	global_store_dword v[4:5], v2, off
	global_store_dword v[4:5], v1, off offset:1024
	global_store_dword v[4:5], v18, off offset:2048
	;; [unrolled: 1-line block ×3, first 2 shown]
	v_addc_co_u32_e32 v1, vcc, 0, v3, vcc
	global_store_dword v[0:1], v16, off
	global_store_dword v[0:1], v14, off offset:1024
	global_store_dword v[0:1], v13, off offset:2048
	;; [unrolled: 1-line block ×3, first 2 shown]
	v_add_co_u32_e32 v0, vcc, 0x6000, v34
	v_addc_co_u32_e32 v1, vcc, 0, v3, vcc
	global_store_dword v[0:1], v12, off
	global_store_dword v[0:1], v11, off offset:1024
	global_store_dword v[0:1], v10, off offset:2048
	global_store_dword v[0:1], v9, off offset:3072
	v_add_co_u32_e32 v0, vcc, 0x7000, v34
	v_addc_co_u32_e32 v1, vcc, 0, v3, vcc
	global_store_dword v[0:1], v25, off
	global_store_dword v[0:1], v24, off offset:1024
	global_store_dword v[0:1], v23, off offset:2048
	;; [unrolled: 1-line block ×3, first 2 shown]
	s_endpgm
	.section	.rodata,"a",@progbits
	.p2align	6, 0x0
	.amdhsa_kernel _Z6kernelI27subtract_right_partial_tileLj256ELj32ELb0EJPiS1_S1_jEEvDpT3_
		.amdhsa_group_segment_fixed_size 2048
		.amdhsa_private_segment_fixed_size 0
		.amdhsa_kernarg_size 28
		.amdhsa_user_sgpr_count 6
		.amdhsa_user_sgpr_private_segment_buffer 1
		.amdhsa_user_sgpr_dispatch_ptr 0
		.amdhsa_user_sgpr_queue_ptr 0
		.amdhsa_user_sgpr_kernarg_segment_ptr 1
		.amdhsa_user_sgpr_dispatch_id 0
		.amdhsa_user_sgpr_flat_scratch_init 0
		.amdhsa_user_sgpr_kernarg_preload_length 0
		.amdhsa_user_sgpr_kernarg_preload_offset 0
		.amdhsa_user_sgpr_private_segment_size 0
		.amdhsa_uses_dynamic_stack 0
		.amdhsa_system_sgpr_private_segment_wavefront_offset 0
		.amdhsa_system_sgpr_workgroup_id_x 1
		.amdhsa_system_sgpr_workgroup_id_y 0
		.amdhsa_system_sgpr_workgroup_id_z 0
		.amdhsa_system_sgpr_workgroup_info 0
		.amdhsa_system_vgpr_workitem_id 0
		.amdhsa_next_free_vgpr 69
		.amdhsa_next_free_sgpr 14
		.amdhsa_accum_offset 72
		.amdhsa_reserve_vcc 1
		.amdhsa_reserve_flat_scratch 0
		.amdhsa_float_round_mode_32 0
		.amdhsa_float_round_mode_16_64 0
		.amdhsa_float_denorm_mode_32 3
		.amdhsa_float_denorm_mode_16_64 3
		.amdhsa_dx10_clamp 1
		.amdhsa_ieee_mode 1
		.amdhsa_fp16_overflow 0
		.amdhsa_tg_split 0
		.amdhsa_exception_fp_ieee_invalid_op 0
		.amdhsa_exception_fp_denorm_src 0
		.amdhsa_exception_fp_ieee_div_zero 0
		.amdhsa_exception_fp_ieee_overflow 0
		.amdhsa_exception_fp_ieee_underflow 0
		.amdhsa_exception_fp_ieee_inexact 0
		.amdhsa_exception_int_div_zero 0
	.end_amdhsa_kernel
	.section	.text._Z6kernelI27subtract_right_partial_tileLj256ELj32ELb0EJPiS1_S1_jEEvDpT3_,"axG",@progbits,_Z6kernelI27subtract_right_partial_tileLj256ELj32ELb0EJPiS1_S1_jEEvDpT3_,comdat
.Lfunc_end185:
	.size	_Z6kernelI27subtract_right_partial_tileLj256ELj32ELb0EJPiS1_S1_jEEvDpT3_, .Lfunc_end185-_Z6kernelI27subtract_right_partial_tileLj256ELj32ELb0EJPiS1_S1_jEEvDpT3_
                                        ; -- End function
	.section	.AMDGPU.csdata,"",@progbits
; Kernel info:
; codeLenInByte = 1648
; NumSgprs: 18
; NumVgprs: 69
; NumAgprs: 0
; TotalNumVgprs: 69
; ScratchSize: 0
; MemoryBound: 0
; FloatMode: 240
; IeeeMode: 1
; LDSByteSize: 2048 bytes/workgroup (compile time only)
; SGPRBlocks: 2
; VGPRBlocks: 8
; NumSGPRsForWavesPerEU: 18
; NumVGPRsForWavesPerEU: 69
; AccumOffset: 72
; Occupancy: 7
; WaveLimiterHint : 1
; COMPUTE_PGM_RSRC2:SCRATCH_EN: 0
; COMPUTE_PGM_RSRC2:USER_SGPR: 6
; COMPUTE_PGM_RSRC2:TRAP_HANDLER: 0
; COMPUTE_PGM_RSRC2:TGID_X_EN: 1
; COMPUTE_PGM_RSRC2:TGID_Y_EN: 0
; COMPUTE_PGM_RSRC2:TGID_Z_EN: 0
; COMPUTE_PGM_RSRC2:TIDIG_COMP_CNT: 0
; COMPUTE_PGM_RSRC3_GFX90A:ACCUM_OFFSET: 17
; COMPUTE_PGM_RSRC3_GFX90A:TG_SPLIT: 0
	.section	.text._Z6kernelI27subtract_right_partial_tileLj256ELj1ELb0EJPfPiS1_jEEvDpT3_,"axG",@progbits,_Z6kernelI27subtract_right_partial_tileLj256ELj1ELb0EJPfPiS1_jEEvDpT3_,comdat
	.protected	_Z6kernelI27subtract_right_partial_tileLj256ELj1ELb0EJPfPiS1_jEEvDpT3_ ; -- Begin function _Z6kernelI27subtract_right_partial_tileLj256ELj1ELb0EJPfPiS1_jEEvDpT3_
	.globl	_Z6kernelI27subtract_right_partial_tileLj256ELj1ELb0EJPfPiS1_jEEvDpT3_
	.p2align	8
	.type	_Z6kernelI27subtract_right_partial_tileLj256ELj1ELb0EJPfPiS1_jEEvDpT3_,@function
_Z6kernelI27subtract_right_partial_tileLj256ELj1ELb0EJPfPiS1_jEEvDpT3_: ; @_Z6kernelI27subtract_right_partial_tileLj256ELj1ELb0EJPfPiS1_jEEvDpT3_
; %bb.0:
	s_load_dwordx4 s[8:11], s[4:5], 0x0
	s_load_dwordx2 s[0:1], s[4:5], 0x10
	s_lshl_b32 s12, s6, 8
	s_mov_b32 s13, 0
	s_lshl_b64 s[2:3], s[12:13], 2
	s_waitcnt lgkmcnt(0)
	s_add_u32 s8, s8, s2
	s_addc_u32 s9, s9, s3
	v_lshlrev_b32_e32 v2, 2, v0
	global_load_dword v1, v2, s[8:9]
	s_load_dword s8, s[4:5], 0x18
	s_mov_b32 s7, s13
	s_lshl_b64 s[4:5], s[6:7], 2
	s_add_u32 s4, s10, s4
	s_addc_u32 s5, s11, s5
	s_waitcnt lgkmcnt(0)
	v_cvt_f32_u32_e32 v3, s8
	s_load_dword s6, s[4:5], 0x0
	s_sub_i32 s4, 0, s8
	v_or_b32_e32 v4, 0x400, v2
	v_rcp_iflag_f32_e32 v3, v3
	v_mul_f32_e32 v3, 0x4f7ffffe, v3
	v_cvt_u32_f32_e32 v3, v3
	v_readfirstlane_b32 s5, v3
	s_mul_i32 s4, s4, s5
	s_mul_hi_u32 s4, s5, s4
	s_add_i32 s5, s5, s4
	s_lshr_b32 s4, s5, 24
	s_mul_i32 s5, s4, s8
	s_sub_i32 s5, 0x100, s5
	s_add_i32 s7, s4, 1
	s_sub_i32 s9, s5, s8
	s_cmp_ge_u32 s5, s8
	s_cselect_b32 s4, s7, s4
	s_cselect_b32 s5, s9, s5
	s_add_i32 s7, s4, 1
	s_cmp_ge_u32 s5, s8
	s_cselect_b32 s7, s7, s4
	s_add_i32 s7, s7, 1
	v_add_u32_e32 v3, 1, v0
	s_max_u32 s8, s8, 1
	s_branch .LBB186_2
.LBB186_1:                              ;   in Loop: Header=BB186_2 Depth=1
	s_or_b64 exec, exec, s[4:5]
	s_add_i32 s4, s7, s6
	s_and_b32 s6, s4, 0xff
	s_add_i32 s8, s8, -1
	v_add_f32_e32 v1, v1, v5
	s_cmp_lg_u32 s8, 0
	s_barrier
	s_cbranch_scc0 .LBB186_4
.LBB186_2:                              ; =>This Inner Loop Header: Depth=1
	s_waitcnt lgkmcnt(0)
	v_cmp_gt_u32_e32 vcc, s6, v3
	s_waitcnt vmcnt(0)
	v_mov_b32_e32 v5, v1
	ds_write_b32 v2, v1 offset:1024
	s_waitcnt lgkmcnt(0)
	s_barrier
	s_and_saveexec_b64 s[4:5], vcc
	s_cbranch_execz .LBB186_1
; %bb.3:                                ;   in Loop: Header=BB186_2 Depth=1
	ds_read_b32 v5, v4 offset:4
	s_waitcnt lgkmcnt(0)
	v_sub_f32_e32 v5, v1, v5
	s_branch .LBB186_1
.LBB186_4:
	s_add_u32 s0, s0, s2
	s_addc_u32 s1, s1, s3
	v_lshlrev_b32_e32 v0, 2, v0
	global_store_dword v0, v1, s[0:1]
	s_endpgm
	.section	.rodata,"a",@progbits
	.p2align	6, 0x0
	.amdhsa_kernel _Z6kernelI27subtract_right_partial_tileLj256ELj1ELb0EJPfPiS1_jEEvDpT3_
		.amdhsa_group_segment_fixed_size 2048
		.amdhsa_private_segment_fixed_size 0
		.amdhsa_kernarg_size 28
		.amdhsa_user_sgpr_count 6
		.amdhsa_user_sgpr_private_segment_buffer 1
		.amdhsa_user_sgpr_dispatch_ptr 0
		.amdhsa_user_sgpr_queue_ptr 0
		.amdhsa_user_sgpr_kernarg_segment_ptr 1
		.amdhsa_user_sgpr_dispatch_id 0
		.amdhsa_user_sgpr_flat_scratch_init 0
		.amdhsa_user_sgpr_kernarg_preload_length 0
		.amdhsa_user_sgpr_kernarg_preload_offset 0
		.amdhsa_user_sgpr_private_segment_size 0
		.amdhsa_uses_dynamic_stack 0
		.amdhsa_system_sgpr_private_segment_wavefront_offset 0
		.amdhsa_system_sgpr_workgroup_id_x 1
		.amdhsa_system_sgpr_workgroup_id_y 0
		.amdhsa_system_sgpr_workgroup_id_z 0
		.amdhsa_system_sgpr_workgroup_info 0
		.amdhsa_system_vgpr_workitem_id 0
		.amdhsa_next_free_vgpr 6
		.amdhsa_next_free_sgpr 14
		.amdhsa_accum_offset 8
		.amdhsa_reserve_vcc 1
		.amdhsa_reserve_flat_scratch 0
		.amdhsa_float_round_mode_32 0
		.amdhsa_float_round_mode_16_64 0
		.amdhsa_float_denorm_mode_32 3
		.amdhsa_float_denorm_mode_16_64 3
		.amdhsa_dx10_clamp 1
		.amdhsa_ieee_mode 1
		.amdhsa_fp16_overflow 0
		.amdhsa_tg_split 0
		.amdhsa_exception_fp_ieee_invalid_op 0
		.amdhsa_exception_fp_denorm_src 0
		.amdhsa_exception_fp_ieee_div_zero 0
		.amdhsa_exception_fp_ieee_overflow 0
		.amdhsa_exception_fp_ieee_underflow 0
		.amdhsa_exception_fp_ieee_inexact 0
		.amdhsa_exception_int_div_zero 0
	.end_amdhsa_kernel
	.section	.text._Z6kernelI27subtract_right_partial_tileLj256ELj1ELb0EJPfPiS1_jEEvDpT3_,"axG",@progbits,_Z6kernelI27subtract_right_partial_tileLj256ELj1ELb0EJPfPiS1_jEEvDpT3_,comdat
.Lfunc_end186:
	.size	_Z6kernelI27subtract_right_partial_tileLj256ELj1ELb0EJPfPiS1_jEEvDpT3_, .Lfunc_end186-_Z6kernelI27subtract_right_partial_tileLj256ELj1ELb0EJPfPiS1_jEEvDpT3_
                                        ; -- End function
	.section	.AMDGPU.csdata,"",@progbits
; Kernel info:
; codeLenInByte = 320
; NumSgprs: 18
; NumVgprs: 6
; NumAgprs: 0
; TotalNumVgprs: 6
; ScratchSize: 0
; MemoryBound: 0
; FloatMode: 240
; IeeeMode: 1
; LDSByteSize: 2048 bytes/workgroup (compile time only)
; SGPRBlocks: 2
; VGPRBlocks: 0
; NumSGPRsForWavesPerEU: 18
; NumVGPRsForWavesPerEU: 6
; AccumOffset: 8
; Occupancy: 8
; WaveLimiterHint : 0
; COMPUTE_PGM_RSRC2:SCRATCH_EN: 0
; COMPUTE_PGM_RSRC2:USER_SGPR: 6
; COMPUTE_PGM_RSRC2:TRAP_HANDLER: 0
; COMPUTE_PGM_RSRC2:TGID_X_EN: 1
; COMPUTE_PGM_RSRC2:TGID_Y_EN: 0
; COMPUTE_PGM_RSRC2:TGID_Z_EN: 0
; COMPUTE_PGM_RSRC2:TIDIG_COMP_CNT: 0
; COMPUTE_PGM_RSRC3_GFX90A:ACCUM_OFFSET: 1
; COMPUTE_PGM_RSRC3_GFX90A:TG_SPLIT: 0
	.section	.text._Z6kernelI27subtract_right_partial_tileLj256ELj3ELb0EJPfPiS1_jEEvDpT3_,"axG",@progbits,_Z6kernelI27subtract_right_partial_tileLj256ELj3ELb0EJPfPiS1_jEEvDpT3_,comdat
	.protected	_Z6kernelI27subtract_right_partial_tileLj256ELj3ELb0EJPfPiS1_jEEvDpT3_ ; -- Begin function _Z6kernelI27subtract_right_partial_tileLj256ELj3ELb0EJPfPiS1_jEEvDpT3_
	.globl	_Z6kernelI27subtract_right_partial_tileLj256ELj3ELb0EJPfPiS1_jEEvDpT3_
	.p2align	8
	.type	_Z6kernelI27subtract_right_partial_tileLj256ELj3ELb0EJPfPiS1_jEEvDpT3_,@function
_Z6kernelI27subtract_right_partial_tileLj256ELj3ELb0EJPfPiS1_jEEvDpT3_: ; @_Z6kernelI27subtract_right_partial_tileLj256ELj3ELb0EJPfPiS1_jEEvDpT3_
; %bb.0:
	s_load_dwordx4 s[8:11], s[4:5], 0x0
	s_load_dwordx2 s[0:1], s[4:5], 0x10
	s_mul_i32 s12, s6, 0x300
	s_mov_b32 s13, 0
	s_lshl_b64 s[2:3], s[12:13], 2
	s_waitcnt lgkmcnt(0)
	s_add_u32 s8, s8, s2
	s_addc_u32 s9, s9, s3
	v_lshlrev_b32_e32 v4, 2, v0
	global_load_dword v1, v4, s[8:9]
	global_load_dword v2, v4, s[8:9] offset:1024
	global_load_dword v3, v4, s[8:9] offset:2048
	s_load_dword s8, s[4:5], 0x18
	s_mov_b32 s7, s13
	s_lshl_b64 s[4:5], s[6:7], 2
	s_add_u32 s4, s10, s4
	s_addc_u32 s5, s11, s5
	s_waitcnt lgkmcnt(0)
	v_cvt_f32_u32_e32 v5, s8
	s_load_dword s6, s[4:5], 0x0
	s_sub_i32 s4, 0, s8
	v_mad_u32_u24 v6, v0, 3, 2
	v_rcp_iflag_f32_e32 v5, v5
	v_mad_u32_u24 v7, v0, 3, 3
	v_or_b32_e32 v8, 0x400, v4
	v_mul_f32_e32 v5, 0x4f7ffffe, v5
	v_cvt_u32_f32_e32 v5, v5
	v_readfirstlane_b32 s5, v5
	s_mul_i32 s4, s4, s5
	s_mul_hi_u32 s4, s5, s4
	s_add_i32 s5, s5, s4
	s_mul_hi_u32 s4, s5, 0x300
	s_mul_i32 s5, s4, s8
	s_sub_i32 s5, 0x300, s5
	s_add_i32 s7, s4, 1
	s_sub_i32 s9, s5, s8
	s_cmp_ge_u32 s5, s8
	s_cselect_b32 s4, s7, s4
	s_cselect_b32 s5, s9, s5
	s_add_i32 s7, s4, 1
	s_cmp_ge_u32 s5, s8
	s_cselect_b32 s7, s7, s4
	s_add_i32 s7, s7, 1
	v_mad_u32_u24 v5, v0, 3, 1
	s_max_u32 s8, s8, 1
	s_branch .LBB187_2
.LBB187_1:                              ;   in Loop: Header=BB187_2 Depth=1
	s_or_b64 exec, exec, s[4:5]
	s_add_i32 s4, s7, s6
	s_mul_hi_u32 s5, s4, 0xaaaaaaab
	s_lshr_b32 s5, s5, 9
	s_mulk_i32 s5, 0x300
	s_sub_i32 s6, s4, s5
	s_add_i32 s8, s8, -1
	v_add_f32_e32 v2, v2, v10
	v_add_f32_e32 v1, v1, v9
	;; [unrolled: 1-line block ×3, first 2 shown]
	s_cmp_lg_u32 s8, 0
	s_barrier
	s_cbranch_scc0 .LBB187_4
.LBB187_2:                              ; =>This Inner Loop Header: Depth=1
	s_waitcnt vmcnt(1)
	v_sub_f32_e32 v9, v1, v2
	s_waitcnt lgkmcnt(0)
	v_cmp_gt_u32_e32 vcc, s6, v5
	v_cndmask_b32_e32 v9, v1, v9, vcc
	s_waitcnt vmcnt(0)
	v_sub_f32_e32 v10, v2, v3
	v_cmp_gt_u32_e32 vcc, s6, v6
	v_cndmask_b32_e32 v10, v2, v10, vcc
	v_cmp_gt_u32_e32 vcc, s6, v7
	v_mov_b32_e32 v11, v3
	ds_write_b32 v4, v1 offset:1024
	s_waitcnt lgkmcnt(0)
	s_barrier
	s_and_saveexec_b64 s[4:5], vcc
	s_cbranch_execz .LBB187_1
; %bb.3:                                ;   in Loop: Header=BB187_2 Depth=1
	ds_read_b32 v11, v8 offset:4
	s_waitcnt lgkmcnt(0)
	v_sub_f32_e32 v11, v3, v11
	s_branch .LBB187_1
.LBB187_4:
	s_add_u32 s0, s0, s2
	s_addc_u32 s1, s1, s3
	v_lshlrev_b32_e32 v0, 2, v0
	global_store_dword v0, v1, s[0:1]
	global_store_dword v0, v2, s[0:1] offset:1024
	global_store_dword v0, v3, s[0:1] offset:2048
	s_endpgm
	.section	.rodata,"a",@progbits
	.p2align	6, 0x0
	.amdhsa_kernel _Z6kernelI27subtract_right_partial_tileLj256ELj3ELb0EJPfPiS1_jEEvDpT3_
		.amdhsa_group_segment_fixed_size 2048
		.amdhsa_private_segment_fixed_size 0
		.amdhsa_kernarg_size 28
		.amdhsa_user_sgpr_count 6
		.amdhsa_user_sgpr_private_segment_buffer 1
		.amdhsa_user_sgpr_dispatch_ptr 0
		.amdhsa_user_sgpr_queue_ptr 0
		.amdhsa_user_sgpr_kernarg_segment_ptr 1
		.amdhsa_user_sgpr_dispatch_id 0
		.amdhsa_user_sgpr_flat_scratch_init 0
		.amdhsa_user_sgpr_kernarg_preload_length 0
		.amdhsa_user_sgpr_kernarg_preload_offset 0
		.amdhsa_user_sgpr_private_segment_size 0
		.amdhsa_uses_dynamic_stack 0
		.amdhsa_system_sgpr_private_segment_wavefront_offset 0
		.amdhsa_system_sgpr_workgroup_id_x 1
		.amdhsa_system_sgpr_workgroup_id_y 0
		.amdhsa_system_sgpr_workgroup_id_z 0
		.amdhsa_system_sgpr_workgroup_info 0
		.amdhsa_system_vgpr_workitem_id 0
		.amdhsa_next_free_vgpr 12
		.amdhsa_next_free_sgpr 14
		.amdhsa_accum_offset 12
		.amdhsa_reserve_vcc 1
		.amdhsa_reserve_flat_scratch 0
		.amdhsa_float_round_mode_32 0
		.amdhsa_float_round_mode_16_64 0
		.amdhsa_float_denorm_mode_32 3
		.amdhsa_float_denorm_mode_16_64 3
		.amdhsa_dx10_clamp 1
		.amdhsa_ieee_mode 1
		.amdhsa_fp16_overflow 0
		.amdhsa_tg_split 0
		.amdhsa_exception_fp_ieee_invalid_op 0
		.amdhsa_exception_fp_denorm_src 0
		.amdhsa_exception_fp_ieee_div_zero 0
		.amdhsa_exception_fp_ieee_overflow 0
		.amdhsa_exception_fp_ieee_underflow 0
		.amdhsa_exception_fp_ieee_inexact 0
		.amdhsa_exception_int_div_zero 0
	.end_amdhsa_kernel
	.section	.text._Z6kernelI27subtract_right_partial_tileLj256ELj3ELb0EJPfPiS1_jEEvDpT3_,"axG",@progbits,_Z6kernelI27subtract_right_partial_tileLj256ELj3ELb0EJPfPiS1_jEEvDpT3_,comdat
.Lfunc_end187:
	.size	_Z6kernelI27subtract_right_partial_tileLj256ELj3ELb0EJPfPiS1_jEEvDpT3_, .Lfunc_end187-_Z6kernelI27subtract_right_partial_tileLj256ELj3ELb0EJPfPiS1_jEEvDpT3_
                                        ; -- End function
	.section	.AMDGPU.csdata,"",@progbits
; Kernel info:
; codeLenInByte = 428
; NumSgprs: 18
; NumVgprs: 12
; NumAgprs: 0
; TotalNumVgprs: 12
; ScratchSize: 0
; MemoryBound: 0
; FloatMode: 240
; IeeeMode: 1
; LDSByteSize: 2048 bytes/workgroup (compile time only)
; SGPRBlocks: 2
; VGPRBlocks: 1
; NumSGPRsForWavesPerEU: 18
; NumVGPRsForWavesPerEU: 12
; AccumOffset: 12
; Occupancy: 8
; WaveLimiterHint : 1
; COMPUTE_PGM_RSRC2:SCRATCH_EN: 0
; COMPUTE_PGM_RSRC2:USER_SGPR: 6
; COMPUTE_PGM_RSRC2:TRAP_HANDLER: 0
; COMPUTE_PGM_RSRC2:TGID_X_EN: 1
; COMPUTE_PGM_RSRC2:TGID_Y_EN: 0
; COMPUTE_PGM_RSRC2:TGID_Z_EN: 0
; COMPUTE_PGM_RSRC2:TIDIG_COMP_CNT: 0
; COMPUTE_PGM_RSRC3_GFX90A:ACCUM_OFFSET: 2
; COMPUTE_PGM_RSRC3_GFX90A:TG_SPLIT: 0
	.section	.text._Z6kernelI27subtract_right_partial_tileLj256ELj4ELb0EJPfPiS1_jEEvDpT3_,"axG",@progbits,_Z6kernelI27subtract_right_partial_tileLj256ELj4ELb0EJPfPiS1_jEEvDpT3_,comdat
	.protected	_Z6kernelI27subtract_right_partial_tileLj256ELj4ELb0EJPfPiS1_jEEvDpT3_ ; -- Begin function _Z6kernelI27subtract_right_partial_tileLj256ELj4ELb0EJPfPiS1_jEEvDpT3_
	.globl	_Z6kernelI27subtract_right_partial_tileLj256ELj4ELb0EJPfPiS1_jEEvDpT3_
	.p2align	8
	.type	_Z6kernelI27subtract_right_partial_tileLj256ELj4ELb0EJPfPiS1_jEEvDpT3_,@function
_Z6kernelI27subtract_right_partial_tileLj256ELj4ELb0EJPfPiS1_jEEvDpT3_: ; @_Z6kernelI27subtract_right_partial_tileLj256ELj4ELb0EJPfPiS1_jEEvDpT3_
; %bb.0:
	s_load_dwordx4 s[8:11], s[4:5], 0x0
	s_load_dwordx2 s[0:1], s[4:5], 0x10
	s_lshl_b32 s12, s6, 10
	s_mov_b32 s13, 0
	s_lshl_b64 s[2:3], s[12:13], 2
	s_waitcnt lgkmcnt(0)
	s_add_u32 s8, s8, s2
	s_addc_u32 s9, s9, s3
	v_lshlrev_b32_e32 v1, 2, v0
	global_load_dword v4, v1, s[8:9]
	global_load_dword v5, v1, s[8:9] offset:1024
	global_load_dword v2, v1, s[8:9] offset:2048
	;; [unrolled: 1-line block ×3, first 2 shown]
	s_load_dword s8, s[4:5], 0x18
	s_mov_b32 s7, s13
	s_lshl_b64 s[4:5], s[6:7], 2
	s_add_u32 s4, s10, s4
	s_addc_u32 s5, s11, s5
	s_waitcnt lgkmcnt(0)
	v_cvt_f32_u32_e32 v6, s8
	s_load_dword s6, s[4:5], 0x0
	s_sub_i32 s4, 0, s8
	v_or_b32_e32 v10, 1, v1
	v_rcp_iflag_f32_e32 v6, v6
	v_or_b32_e32 v11, 2, v1
	v_or_b32_e32 v12, 3, v1
	v_add_u32_e32 v13, 4, v1
	v_mul_f32_e32 v6, 0x4f7ffffe, v6
	v_cvt_u32_f32_e32 v6, v6
	v_or_b32_e32 v14, 0x400, v1
	v_readfirstlane_b32 s5, v6
	s_mul_i32 s4, s4, s5
	s_mul_hi_u32 s4, s5, s4
	s_add_i32 s5, s5, s4
	s_lshr_b32 s4, s5, 22
	s_mul_i32 s5, s4, s8
	s_sub_i32 s5, 0x400, s5
	s_add_i32 s7, s4, 1
	s_sub_i32 s9, s5, s8
	s_cmp_ge_u32 s5, s8
	s_cselect_b32 s4, s7, s4
	s_cselect_b32 s5, s9, s5
	s_add_i32 s7, s4, 1
	s_cmp_ge_u32 s5, s8
	s_cselect_b32 s7, s7, s4
	s_add_i32 s7, s7, 1
	s_max_u32 s8, s8, 1
	s_branch .LBB188_2
.LBB188_1:                              ;   in Loop: Header=BB188_2 Depth=1
	s_or_b64 exec, exec, s[4:5]
	s_add_i32 s4, s7, s6
	s_and_b32 s6, s4, 0x3ff
	s_add_i32 s8, s8, -1
	v_pk_add_f32 v[2:3], v[2:3], v[8:9]
	v_pk_add_f32 v[4:5], v[4:5], v[6:7]
	s_cmp_lg_u32 s8, 0
	s_barrier
	s_cbranch_scc0 .LBB188_4
.LBB188_2:                              ; =>This Inner Loop Header: Depth=1
	s_waitcnt vmcnt(2)
	v_sub_f32_e32 v6, v4, v5
	s_waitcnt lgkmcnt(0)
	v_cmp_gt_u32_e32 vcc, s6, v10
	v_cndmask_b32_e32 v6, v4, v6, vcc
	s_waitcnt vmcnt(1)
	v_sub_f32_e32 v7, v5, v2
	v_cmp_gt_u32_e32 vcc, s6, v11
	v_cndmask_b32_e32 v7, v5, v7, vcc
	s_waitcnt vmcnt(0)
	v_sub_f32_e32 v8, v2, v3
	v_cmp_gt_u32_e32 vcc, s6, v12
	v_cndmask_b32_e32 v8, v2, v8, vcc
	v_cmp_gt_u32_e32 vcc, s6, v13
	v_mov_b32_e32 v9, v3
	ds_write_b32 v1, v4 offset:1024
	s_waitcnt lgkmcnt(0)
	s_barrier
	s_and_saveexec_b64 s[4:5], vcc
	s_cbranch_execz .LBB188_1
; %bb.3:                                ;   in Loop: Header=BB188_2 Depth=1
	ds_read_b32 v9, v14 offset:4
	s_waitcnt lgkmcnt(0)
	v_sub_f32_e32 v9, v3, v9
	s_branch .LBB188_1
.LBB188_4:
	s_add_u32 s0, s0, s2
	s_addc_u32 s1, s1, s3
	v_lshlrev_b32_e32 v0, 2, v0
	global_store_dword v0, v4, s[0:1]
	global_store_dword v0, v5, s[0:1] offset:1024
	global_store_dword v0, v2, s[0:1] offset:2048
	;; [unrolled: 1-line block ×3, first 2 shown]
	s_endpgm
	.section	.rodata,"a",@progbits
	.p2align	6, 0x0
	.amdhsa_kernel _Z6kernelI27subtract_right_partial_tileLj256ELj4ELb0EJPfPiS1_jEEvDpT3_
		.amdhsa_group_segment_fixed_size 2048
		.amdhsa_private_segment_fixed_size 0
		.amdhsa_kernarg_size 28
		.amdhsa_user_sgpr_count 6
		.amdhsa_user_sgpr_private_segment_buffer 1
		.amdhsa_user_sgpr_dispatch_ptr 0
		.amdhsa_user_sgpr_queue_ptr 0
		.amdhsa_user_sgpr_kernarg_segment_ptr 1
		.amdhsa_user_sgpr_dispatch_id 0
		.amdhsa_user_sgpr_flat_scratch_init 0
		.amdhsa_user_sgpr_kernarg_preload_length 0
		.amdhsa_user_sgpr_kernarg_preload_offset 0
		.amdhsa_user_sgpr_private_segment_size 0
		.amdhsa_uses_dynamic_stack 0
		.amdhsa_system_sgpr_private_segment_wavefront_offset 0
		.amdhsa_system_sgpr_workgroup_id_x 1
		.amdhsa_system_sgpr_workgroup_id_y 0
		.amdhsa_system_sgpr_workgroup_id_z 0
		.amdhsa_system_sgpr_workgroup_info 0
		.amdhsa_system_vgpr_workitem_id 0
		.amdhsa_next_free_vgpr 15
		.amdhsa_next_free_sgpr 14
		.amdhsa_accum_offset 16
		.amdhsa_reserve_vcc 1
		.amdhsa_reserve_flat_scratch 0
		.amdhsa_float_round_mode_32 0
		.amdhsa_float_round_mode_16_64 0
		.amdhsa_float_denorm_mode_32 3
		.amdhsa_float_denorm_mode_16_64 3
		.amdhsa_dx10_clamp 1
		.amdhsa_ieee_mode 1
		.amdhsa_fp16_overflow 0
		.amdhsa_tg_split 0
		.amdhsa_exception_fp_ieee_invalid_op 0
		.amdhsa_exception_fp_denorm_src 0
		.amdhsa_exception_fp_ieee_div_zero 0
		.amdhsa_exception_fp_ieee_overflow 0
		.amdhsa_exception_fp_ieee_underflow 0
		.amdhsa_exception_fp_ieee_inexact 0
		.amdhsa_exception_int_div_zero 0
	.end_amdhsa_kernel
	.section	.text._Z6kernelI27subtract_right_partial_tileLj256ELj4ELb0EJPfPiS1_jEEvDpT3_,"axG",@progbits,_Z6kernelI27subtract_right_partial_tileLj256ELj4ELb0EJPfPiS1_jEEvDpT3_,comdat
.Lfunc_end188:
	.size	_Z6kernelI27subtract_right_partial_tileLj256ELj4ELb0EJPfPiS1_jEEvDpT3_, .Lfunc_end188-_Z6kernelI27subtract_right_partial_tileLj256ELj4ELb0EJPfPiS1_jEEvDpT3_
                                        ; -- End function
	.section	.AMDGPU.csdata,"",@progbits
; Kernel info:
; codeLenInByte = 436
; NumSgprs: 18
; NumVgprs: 15
; NumAgprs: 0
; TotalNumVgprs: 15
; ScratchSize: 0
; MemoryBound: 0
; FloatMode: 240
; IeeeMode: 1
; LDSByteSize: 2048 bytes/workgroup (compile time only)
; SGPRBlocks: 2
; VGPRBlocks: 1
; NumSGPRsForWavesPerEU: 18
; NumVGPRsForWavesPerEU: 15
; AccumOffset: 16
; Occupancy: 8
; WaveLimiterHint : 1
; COMPUTE_PGM_RSRC2:SCRATCH_EN: 0
; COMPUTE_PGM_RSRC2:USER_SGPR: 6
; COMPUTE_PGM_RSRC2:TRAP_HANDLER: 0
; COMPUTE_PGM_RSRC2:TGID_X_EN: 1
; COMPUTE_PGM_RSRC2:TGID_Y_EN: 0
; COMPUTE_PGM_RSRC2:TGID_Z_EN: 0
; COMPUTE_PGM_RSRC2:TIDIG_COMP_CNT: 0
; COMPUTE_PGM_RSRC3_GFX90A:ACCUM_OFFSET: 3
; COMPUTE_PGM_RSRC3_GFX90A:TG_SPLIT: 0
	.section	.text._Z6kernelI27subtract_right_partial_tileLj256ELj8ELb0EJPfPiS1_jEEvDpT3_,"axG",@progbits,_Z6kernelI27subtract_right_partial_tileLj256ELj8ELb0EJPfPiS1_jEEvDpT3_,comdat
	.protected	_Z6kernelI27subtract_right_partial_tileLj256ELj8ELb0EJPfPiS1_jEEvDpT3_ ; -- Begin function _Z6kernelI27subtract_right_partial_tileLj256ELj8ELb0EJPfPiS1_jEEvDpT3_
	.globl	_Z6kernelI27subtract_right_partial_tileLj256ELj8ELb0EJPfPiS1_jEEvDpT3_
	.p2align	8
	.type	_Z6kernelI27subtract_right_partial_tileLj256ELj8ELb0EJPfPiS1_jEEvDpT3_,@function
_Z6kernelI27subtract_right_partial_tileLj256ELj8ELb0EJPfPiS1_jEEvDpT3_: ; @_Z6kernelI27subtract_right_partial_tileLj256ELj8ELb0EJPfPiS1_jEEvDpT3_
; %bb.0:
	s_load_dwordx4 s[0:3], s[4:5], 0x0
	s_load_dwordx2 s[8:9], s[4:5], 0x10
	s_lshl_b32 s12, s6, 11
	s_mov_b32 s13, 0
	s_lshl_b64 s[10:11], s[12:13], 2
	s_waitcnt lgkmcnt(0)
	s_add_u32 s0, s0, s10
	s_addc_u32 s1, s1, s11
	v_lshlrev_b32_e32 v21, 2, v0
	v_mov_b32_e32 v1, s1
	v_add_co_u32_e32 v4, vcc, s0, v21
	v_addc_co_u32_e32 v1, vcc, 0, v1, vcc
	global_load_dword v2, v21, s[0:1]
	global_load_dword v3, v21, s[0:1] offset:1024
	global_load_dword v15, v21, s[0:1] offset:2048
	;; [unrolled: 1-line block ×3, first 2 shown]
	s_movk_i32 s0, 0x1000
	v_add_co_u32_e32 v16, vcc, s0, v4
	v_addc_co_u32_e32 v17, vcc, 0, v1, vcc
	global_load_dword v13, v[16:17], off
	global_load_dword v9, v[16:17], off offset:1024
	global_load_dword v11, v[16:17], off offset:2048
	;; [unrolled: 1-line block ×3, first 2 shown]
	s_load_dword s4, s[4:5], 0x18
	s_mov_b32 s7, s13
	s_lshl_b64 s[0:1], s[6:7], 2
	s_add_u32 s0, s2, s0
	s_addc_u32 s1, s3, s1
	s_waitcnt lgkmcnt(0)
	v_cvt_f32_u32_e32 v1, s4
	s_load_dword s2, s[0:1], 0x0
	s_sub_i32 s0, 0, s4
	v_lshlrev_b32_e32 v4, 3, v0
	v_rcp_iflag_f32_e32 v1, v1
	v_or_b32_e32 v16, 1, v4
	v_or_b32_e32 v17, 4, v4
	;; [unrolled: 1-line block ×3, first 2 shown]
	v_mul_f32_e32 v1, 0x4f7ffffe, v1
	v_cvt_u32_f32_e32 v1, v1
	v_or_b32_e32 v19, 6, v4
	v_or_b32_e32 v20, 5, v4
	;; [unrolled: 1-line block ×3, first 2 shown]
	v_readfirstlane_b32 s1, v1
	s_mul_i32 s0, s0, s1
	s_mul_hi_u32 s0, s1, s0
	s_add_i32 s1, s1, s0
	s_lshr_b32 s0, s1, 21
	s_mul_i32 s1, s0, s4
	s_sub_i32 s1, 0x800, s1
	s_add_i32 s3, s0, 1
	s_sub_i32 s5, s1, s4
	s_cmp_ge_u32 s1, s4
	s_cselect_b32 s0, s3, s0
	s_cselect_b32 s1, s5, s1
	s_add_i32 s3, s0, 1
	s_cmp_ge_u32 s1, s4
	s_cselect_b32 s3, s3, s0
	s_add_i32 s3, s3, 1
	v_or_b32_e32 v1, 2, v4
	v_add_u32_e32 v25, 8, v4
	v_or_b32_e32 v26, 0x400, v21
	s_max_u32 s4, s4, 1
	s_branch .LBB189_2
.LBB189_1:                              ;   in Loop: Header=BB189_2 Depth=1
	s_or_b64 exec, exec, s[0:1]
	v_mov_b32_e32 v14, v3
	v_pk_add_f32 v[28:29], v[2:3], v[14:15] neg_lo:[0,1] neg_hi:[0,1]
	v_cmp_gt_u32_e32 vcc, s2, v1
	v_cndmask_b32_e32 v29, v3, v29, vcc
	v_cmp_gt_u32_e32 vcc, s2, v16
	v_mov_b32_e32 v4, v15
	v_mov_b32_e32 v12, v5
	v_cndmask_b32_e32 v28, v2, v28, vcc
	v_pk_add_f32 v[30:31], v[4:5], v[12:13] neg_lo:[0,1] neg_hi:[0,1]
	v_cmp_gt_u32_e32 vcc, s2, v17
	v_cndmask_b32_e32 v31, v5, v31, vcc
	v_cmp_gt_u32_e32 vcc, s2, v18
	v_mov_b32_e32 v8, v13
	v_mov_b32_e32 v10, v9
	v_cndmask_b32_e32 v30, v15, v30, vcc
	v_pk_add_f32 v[14:15], v[8:9], v[10:11] neg_lo:[0,1] neg_hi:[0,1]
	v_cmp_gt_u32_e32 vcc, s2, v19
	v_cndmask_b32_e32 v15, v9, v15, vcc
	v_cmp_gt_u32_e32 vcc, s2, v20
	v_cndmask_b32_e32 v14, v13, v14, vcc
	v_sub_f32_e32 v6, v11, v7
	v_cmp_gt_u32_e32 vcc, s2, v24
	v_cndmask_b32_e32 v22, v11, v6, vcc
	v_mov_b32_e32 v6, v11
	s_add_i32 s0, s3, s2
	v_pk_add_f32 v[4:5], v[4:5], v[30:31]
	v_pk_add_f32 v[8:9], v[8:9], v[14:15]
	;; [unrolled: 1-line block ×3, first 2 shown]
	s_and_b32 s2, s0, 0x7ff
	s_add_i32 s4, s4, -1
	v_pk_add_f32 v[2:3], v[2:3], v[28:29]
	s_cmp_lg_u32 s4, 0
	v_mov_b32_e32 v15, v4
	v_mov_b32_e32 v13, v8
	;; [unrolled: 1-line block ×3, first 2 shown]
	s_barrier
	s_cbranch_scc0 .LBB189_4
.LBB189_2:                              ; =>This Inner Loop Header: Depth=1
	s_waitcnt lgkmcnt(0)
	v_cmp_gt_u32_e32 vcc, s2, v25
	s_waitcnt vmcnt(0)
	v_mov_b32_e32 v23, v7
	ds_write_b32 v21, v2 offset:1024
	s_waitcnt lgkmcnt(0)
	s_barrier
	s_and_saveexec_b64 s[0:1], vcc
	s_cbranch_execz .LBB189_1
; %bb.3:                                ;   in Loop: Header=BB189_2 Depth=1
	ds_read_b32 v4, v26 offset:4
	s_waitcnt lgkmcnt(0)
	v_sub_f32_e32 v23, v7, v4
	s_branch .LBB189_1
.LBB189_4:
	s_add_u32 s0, s8, s10
	s_addc_u32 s1, s9, s11
	v_lshlrev_b32_e32 v0, 2, v0
	v_mov_b32_e32 v1, s1
	v_add_co_u32_e32 v10, vcc, s0, v0
	v_addc_co_u32_e32 v1, vcc, 0, v1, vcc
	global_store_dword v0, v2, s[0:1]
	global_store_dword v0, v3, s[0:1] offset:1024
	global_store_dword v0, v4, s[0:1] offset:2048
	;; [unrolled: 1-line block ×3, first 2 shown]
	v_add_co_u32_e32 v0, vcc, 0x1000, v10
	v_addc_co_u32_e32 v1, vcc, 0, v1, vcc
	global_store_dword v[0:1], v8, off
	global_store_dword v[0:1], v9, off offset:1024
	global_store_dword v[0:1], v6, off offset:2048
	;; [unrolled: 1-line block ×3, first 2 shown]
	s_endpgm
	.section	.rodata,"a",@progbits
	.p2align	6, 0x0
	.amdhsa_kernel _Z6kernelI27subtract_right_partial_tileLj256ELj8ELb0EJPfPiS1_jEEvDpT3_
		.amdhsa_group_segment_fixed_size 2048
		.amdhsa_private_segment_fixed_size 0
		.amdhsa_kernarg_size 28
		.amdhsa_user_sgpr_count 6
		.amdhsa_user_sgpr_private_segment_buffer 1
		.amdhsa_user_sgpr_dispatch_ptr 0
		.amdhsa_user_sgpr_queue_ptr 0
		.amdhsa_user_sgpr_kernarg_segment_ptr 1
		.amdhsa_user_sgpr_dispatch_id 0
		.amdhsa_user_sgpr_flat_scratch_init 0
		.amdhsa_user_sgpr_kernarg_preload_length 0
		.amdhsa_user_sgpr_kernarg_preload_offset 0
		.amdhsa_user_sgpr_private_segment_size 0
		.amdhsa_uses_dynamic_stack 0
		.amdhsa_system_sgpr_private_segment_wavefront_offset 0
		.amdhsa_system_sgpr_workgroup_id_x 1
		.amdhsa_system_sgpr_workgroup_id_y 0
		.amdhsa_system_sgpr_workgroup_id_z 0
		.amdhsa_system_sgpr_workgroup_info 0
		.amdhsa_system_vgpr_workitem_id 0
		.amdhsa_next_free_vgpr 32
		.amdhsa_next_free_sgpr 14
		.amdhsa_accum_offset 32
		.amdhsa_reserve_vcc 1
		.amdhsa_reserve_flat_scratch 0
		.amdhsa_float_round_mode_32 0
		.amdhsa_float_round_mode_16_64 0
		.amdhsa_float_denorm_mode_32 3
		.amdhsa_float_denorm_mode_16_64 3
		.amdhsa_dx10_clamp 1
		.amdhsa_ieee_mode 1
		.amdhsa_fp16_overflow 0
		.amdhsa_tg_split 0
		.amdhsa_exception_fp_ieee_invalid_op 0
		.amdhsa_exception_fp_denorm_src 0
		.amdhsa_exception_fp_ieee_div_zero 0
		.amdhsa_exception_fp_ieee_overflow 0
		.amdhsa_exception_fp_ieee_underflow 0
		.amdhsa_exception_fp_ieee_inexact 0
		.amdhsa_exception_int_div_zero 0
	.end_amdhsa_kernel
	.section	.text._Z6kernelI27subtract_right_partial_tileLj256ELj8ELb0EJPfPiS1_jEEvDpT3_,"axG",@progbits,_Z6kernelI27subtract_right_partial_tileLj256ELj8ELb0EJPfPiS1_jEEvDpT3_,comdat
.Lfunc_end189:
	.size	_Z6kernelI27subtract_right_partial_tileLj256ELj8ELb0EJPfPiS1_jEEvDpT3_, .Lfunc_end189-_Z6kernelI27subtract_right_partial_tileLj256ELj8ELb0EJPfPiS1_jEEvDpT3_
                                        ; -- End function
	.section	.AMDGPU.csdata,"",@progbits
; Kernel info:
; codeLenInByte = 660
; NumSgprs: 18
; NumVgprs: 32
; NumAgprs: 0
; TotalNumVgprs: 32
; ScratchSize: 0
; MemoryBound: 0
; FloatMode: 240
; IeeeMode: 1
; LDSByteSize: 2048 bytes/workgroup (compile time only)
; SGPRBlocks: 2
; VGPRBlocks: 3
; NumSGPRsForWavesPerEU: 18
; NumVGPRsForWavesPerEU: 32
; AccumOffset: 32
; Occupancy: 8
; WaveLimiterHint : 1
; COMPUTE_PGM_RSRC2:SCRATCH_EN: 0
; COMPUTE_PGM_RSRC2:USER_SGPR: 6
; COMPUTE_PGM_RSRC2:TRAP_HANDLER: 0
; COMPUTE_PGM_RSRC2:TGID_X_EN: 1
; COMPUTE_PGM_RSRC2:TGID_Y_EN: 0
; COMPUTE_PGM_RSRC2:TGID_Z_EN: 0
; COMPUTE_PGM_RSRC2:TIDIG_COMP_CNT: 0
; COMPUTE_PGM_RSRC3_GFX90A:ACCUM_OFFSET: 7
; COMPUTE_PGM_RSRC3_GFX90A:TG_SPLIT: 0
	.section	.text._Z6kernelI27subtract_right_partial_tileLj256ELj16ELb0EJPfPiS1_jEEvDpT3_,"axG",@progbits,_Z6kernelI27subtract_right_partial_tileLj256ELj16ELb0EJPfPiS1_jEEvDpT3_,comdat
	.protected	_Z6kernelI27subtract_right_partial_tileLj256ELj16ELb0EJPfPiS1_jEEvDpT3_ ; -- Begin function _Z6kernelI27subtract_right_partial_tileLj256ELj16ELb0EJPfPiS1_jEEvDpT3_
	.globl	_Z6kernelI27subtract_right_partial_tileLj256ELj16ELb0EJPfPiS1_jEEvDpT3_
	.p2align	8
	.type	_Z6kernelI27subtract_right_partial_tileLj256ELj16ELb0EJPfPiS1_jEEvDpT3_,@function
_Z6kernelI27subtract_right_partial_tileLj256ELj16ELb0EJPfPiS1_jEEvDpT3_: ; @_Z6kernelI27subtract_right_partial_tileLj256ELj16ELb0EJPfPiS1_jEEvDpT3_
; %bb.0:
	s_load_dwordx4 s[0:3], s[4:5], 0x0
	s_load_dwordx2 s[8:9], s[4:5], 0x10
	s_lshl_b32 s12, s6, 12
	s_mov_b32 s13, 0
	s_lshl_b64 s[10:11], s[12:13], 2
	s_waitcnt lgkmcnt(0)
	s_add_u32 s0, s0, s10
	s_addc_u32 s1, s1, s11
	v_lshlrev_b32_e32 v31, 2, v0
	v_mov_b32_e32 v1, s1
	v_add_co_u32_e32 v12, vcc, s0, v31
	v_addc_co_u32_e32 v1, vcc, 0, v1, vcc
	global_load_dword v5, v31, s[0:1]
	global_load_dword v4, v31, s[0:1] offset:1024
	global_load_dword v3, v31, s[0:1] offset:2048
	;; [unrolled: 1-line block ×3, first 2 shown]
	s_movk_i32 s0, 0x1000
	v_add_co_u32_e32 v18, vcc, s0, v12
	v_addc_co_u32_e32 v19, vcc, 0, v1, vcc
	s_movk_i32 s0, 0x2000
	v_add_co_u32_e32 v10, vcc, s0, v12
	v_addc_co_u32_e32 v11, vcc, 0, v1, vcc
	s_movk_i32 s0, 0x3000
	v_add_co_u32_e32 v20, vcc, s0, v12
	global_load_dword v15, v[10:11], off offset:-4096
	global_load_dword v9, v[10:11], off
	global_load_dword v8, v[10:11], off offset:1024
	global_load_dword v7, v[10:11], off offset:2048
	;; [unrolled: 1-line block ×3, first 2 shown]
	v_addc_co_u32_e32 v21, vcc, 0, v1, vcc
	global_load_dword v14, v[18:19], off offset:1024
	global_load_dword v17, v[18:19], off offset:2048
	global_load_dword v16, v[18:19], off offset:3072
	global_load_dword v13, v[20:21], off
	global_load_dword v12, v[20:21], off offset:1024
	global_load_dword v11, v[20:21], off offset:2048
	;; [unrolled: 1-line block ×3, first 2 shown]
	s_load_dword s4, s[4:5], 0x18
	s_mov_b32 s7, s13
	s_lshl_b64 s[0:1], s[6:7], 2
	s_add_u32 s0, s2, s0
	s_addc_u32 s1, s3, s1
	s_waitcnt lgkmcnt(0)
	v_cvt_f32_u32_e32 v1, s4
	s_load_dword s2, s[0:1], 0x0
	s_sub_i32 s0, 0, s4
	v_lshlrev_b32_e32 v32, 4, v0
	v_rcp_iflag_f32_e32 v1, v1
	v_or_b32_e32 v18, 2, v32
	v_or_b32_e32 v19, 3, v32
	;; [unrolled: 1-line block ×3, first 2 shown]
	v_mul_f32_e32 v1, 0x4f7ffffe, v1
	v_cvt_u32_f32_e32 v1, v1
	v_or_b32_e32 v21, 5, v32
	v_or_b32_e32 v22, 6, v32
	;; [unrolled: 1-line block ×3, first 2 shown]
	v_readfirstlane_b32 s1, v1
	s_mul_i32 s0, s0, s1
	s_mul_hi_u32 s0, s1, s0
	s_add_i32 s1, s1, s0
	s_lshr_b32 s0, s1, 20
	s_mul_i32 s1, s0, s4
	s_sub_i32 s1, 0x1000, s1
	s_add_i32 s3, s0, 1
	s_sub_i32 s5, s1, s4
	s_cmp_ge_u32 s1, s4
	s_cselect_b32 s0, s3, s0
	s_cselect_b32 s1, s5, s1
	s_add_i32 s3, s0, 1
	s_cmp_ge_u32 s1, s4
	s_cselect_b32 s3, s3, s0
	s_add_i32 s3, s3, 1
	v_or_b32_e32 v1, 1, v32
	v_or_b32_e32 v24, 8, v32
	;; [unrolled: 1-line block ×9, first 2 shown]
	v_add_u32_e32 v35, 16, v32
	v_or_b32_e32 v36, 0x400, v31
	s_max_u32 s4, s4, 1
	s_branch .LBB190_2
.LBB190_1:                              ;   in Loop: Header=BB190_2 Depth=1
	s_or_b64 exec, exec, s[0:1]
	v_mov_b32_e32 v38, v3
	v_mov_b32_e32 v39, v4
	v_pk_add_f32 v[38:39], v[4:5], v[38:39] neg_lo:[0,1] neg_hi:[0,1]
	v_cmp_gt_u32_e32 vcc, s2, v1
	v_cndmask_b32_e32 v39, v5, v39, vcc
	v_cmp_gt_u32_e32 vcc, s2, v18
	v_mov_b32_e32 v40, v15
	v_mov_b32_e32 v41, v2
	v_cndmask_b32_e32 v38, v4, v38, vcc
	v_pk_add_f32 v[40:41], v[2:3], v[40:41] neg_lo:[0,1] neg_hi:[0,1]
	v_cmp_gt_u32_e32 vcc, s2, v19
	v_cndmask_b32_e32 v41, v3, v41, vcc
	v_cmp_gt_u32_e32 vcc, s2, v20
	v_mov_b32_e32 v42, v17
	v_mov_b32_e32 v43, v14
	v_cndmask_b32_e32 v40, v2, v40, vcc
	;; [unrolled: 7-line block ×5, first 2 shown]
	v_pk_add_f32 v[48:49], v[6:7], v[48:49] neg_lo:[0,1] neg_hi:[0,1]
	v_cmp_gt_u32_e32 vcc, s2, v28
	v_cmp_gt_u32_e64 s[0:1], s2, v27
	v_mov_b32_e32 v50, v11
	v_mov_b32_e32 v51, v12
	v_cndmask_b32_e64 v49, v7, v49, s[0:1]
	v_cndmask_b32_e32 v48, v6, v48, vcc
	v_pk_add_f32 v[50:51], v[12:13], v[50:51] neg_lo:[0,1] neg_hi:[0,1]
	v_cmp_gt_u32_e32 vcc, s2, v30
	v_cmp_gt_u32_e64 s[0:1], s2, v29
	v_cndmask_b32_e64 v51, v13, v51, s[0:1]
	v_cndmask_b32_e32 v50, v12, v50, vcc
	v_sub_f32_e32 v33, v11, v10
	v_cmp_gt_u32_e32 vcc, s2, v34
	s_add_i32 s0, s3, s2
	v_cndmask_b32_e32 v33, v11, v33, vcc
	s_and_b32 s2, s0, 0xfff
	s_add_i32 s4, s4, -1
	v_pk_add_f32 v[4:5], v[4:5], v[38:39]
	v_pk_add_f32 v[2:3], v[2:3], v[40:41]
	;; [unrolled: 1-line block ×8, first 2 shown]
	s_cmp_lg_u32 s4, 0
	s_barrier
	s_cbranch_scc0 .LBB190_4
.LBB190_2:                              ; =>This Inner Loop Header: Depth=1
	s_waitcnt lgkmcnt(0)
	v_cmp_gt_u32_e32 vcc, s2, v35
	s_waitcnt vmcnt(0)
	v_pk_mov_b32 v[32:33], v[10:11], v[10:11] op_sel:[0,1]
	ds_write_b32 v31, v5 offset:1024
	s_waitcnt lgkmcnt(0)
	s_barrier
	s_and_saveexec_b64 s[0:1], vcc
	s_cbranch_execz .LBB190_1
; %bb.3:                                ;   in Loop: Header=BB190_2 Depth=1
	ds_read_b32 v32, v36 offset:4
	s_waitcnt lgkmcnt(0)
	v_sub_f32_e32 v32, v10, v32
	s_branch .LBB190_1
.LBB190_4:
	s_add_u32 s0, s8, s10
	s_addc_u32 s1, s9, s11
	v_lshlrev_b32_e32 v0, 2, v0
	v_mov_b32_e32 v1, s1
	v_add_co_u32_e32 v18, vcc, s0, v0
	v_addc_co_u32_e32 v19, vcc, 0, v1, vcc
	global_store_dword v0, v5, s[0:1]
	global_store_dword v0, v4, s[0:1] offset:1024
	global_store_dword v0, v3, s[0:1] offset:2048
	;; [unrolled: 1-line block ×3, first 2 shown]
	v_add_co_u32_e32 v0, vcc, 0x1000, v18
	v_addc_co_u32_e32 v1, vcc, 0, v19, vcc
	global_store_dword v[0:1], v15, off
	global_store_dword v[0:1], v14, off offset:1024
	global_store_dword v[0:1], v17, off offset:2048
	global_store_dword v[0:1], v16, off offset:3072
	v_add_co_u32_e32 v0, vcc, 0x2000, v18
	v_addc_co_u32_e32 v1, vcc, 0, v19, vcc
	global_store_dword v[0:1], v9, off
	global_store_dword v[0:1], v8, off offset:1024
	global_store_dword v[0:1], v7, off offset:2048
	global_store_dword v[0:1], v6, off offset:3072
	;; [unrolled: 6-line block ×3, first 2 shown]
	s_endpgm
	.section	.rodata,"a",@progbits
	.p2align	6, 0x0
	.amdhsa_kernel _Z6kernelI27subtract_right_partial_tileLj256ELj16ELb0EJPfPiS1_jEEvDpT3_
		.amdhsa_group_segment_fixed_size 2048
		.amdhsa_private_segment_fixed_size 0
		.amdhsa_kernarg_size 28
		.amdhsa_user_sgpr_count 6
		.amdhsa_user_sgpr_private_segment_buffer 1
		.amdhsa_user_sgpr_dispatch_ptr 0
		.amdhsa_user_sgpr_queue_ptr 0
		.amdhsa_user_sgpr_kernarg_segment_ptr 1
		.amdhsa_user_sgpr_dispatch_id 0
		.amdhsa_user_sgpr_flat_scratch_init 0
		.amdhsa_user_sgpr_kernarg_preload_length 0
		.amdhsa_user_sgpr_kernarg_preload_offset 0
		.amdhsa_user_sgpr_private_segment_size 0
		.amdhsa_uses_dynamic_stack 0
		.amdhsa_system_sgpr_private_segment_wavefront_offset 0
		.amdhsa_system_sgpr_workgroup_id_x 1
		.amdhsa_system_sgpr_workgroup_id_y 0
		.amdhsa_system_sgpr_workgroup_id_z 0
		.amdhsa_system_sgpr_workgroup_info 0
		.amdhsa_system_vgpr_workitem_id 0
		.amdhsa_next_free_vgpr 52
		.amdhsa_next_free_sgpr 14
		.amdhsa_accum_offset 52
		.amdhsa_reserve_vcc 1
		.amdhsa_reserve_flat_scratch 0
		.amdhsa_float_round_mode_32 0
		.amdhsa_float_round_mode_16_64 0
		.amdhsa_float_denorm_mode_32 3
		.amdhsa_float_denorm_mode_16_64 3
		.amdhsa_dx10_clamp 1
		.amdhsa_ieee_mode 1
		.amdhsa_fp16_overflow 0
		.amdhsa_tg_split 0
		.amdhsa_exception_fp_ieee_invalid_op 0
		.amdhsa_exception_fp_denorm_src 0
		.amdhsa_exception_fp_ieee_div_zero 0
		.amdhsa_exception_fp_ieee_overflow 0
		.amdhsa_exception_fp_ieee_underflow 0
		.amdhsa_exception_fp_ieee_inexact 0
		.amdhsa_exception_int_div_zero 0
	.end_amdhsa_kernel
	.section	.text._Z6kernelI27subtract_right_partial_tileLj256ELj16ELb0EJPfPiS1_jEEvDpT3_,"axG",@progbits,_Z6kernelI27subtract_right_partial_tileLj256ELj16ELb0EJPfPiS1_jEEvDpT3_,comdat
.Lfunc_end190:
	.size	_Z6kernelI27subtract_right_partial_tileLj256ELj16ELb0EJPfPiS1_jEEvDpT3_, .Lfunc_end190-_Z6kernelI27subtract_right_partial_tileLj256ELj16ELb0EJPfPiS1_jEEvDpT3_
                                        ; -- End function
	.section	.AMDGPU.csdata,"",@progbits
; Kernel info:
; codeLenInByte = 1036
; NumSgprs: 18
; NumVgprs: 52
; NumAgprs: 0
; TotalNumVgprs: 52
; ScratchSize: 0
; MemoryBound: 0
; FloatMode: 240
; IeeeMode: 1
; LDSByteSize: 2048 bytes/workgroup (compile time only)
; SGPRBlocks: 2
; VGPRBlocks: 6
; NumSGPRsForWavesPerEU: 18
; NumVGPRsForWavesPerEU: 52
; AccumOffset: 52
; Occupancy: 8
; WaveLimiterHint : 1
; COMPUTE_PGM_RSRC2:SCRATCH_EN: 0
; COMPUTE_PGM_RSRC2:USER_SGPR: 6
; COMPUTE_PGM_RSRC2:TRAP_HANDLER: 0
; COMPUTE_PGM_RSRC2:TGID_X_EN: 1
; COMPUTE_PGM_RSRC2:TGID_Y_EN: 0
; COMPUTE_PGM_RSRC2:TGID_Z_EN: 0
; COMPUTE_PGM_RSRC2:TIDIG_COMP_CNT: 0
; COMPUTE_PGM_RSRC3_GFX90A:ACCUM_OFFSET: 12
; COMPUTE_PGM_RSRC3_GFX90A:TG_SPLIT: 0
	.section	.text._Z6kernelI27subtract_right_partial_tileLj256ELj32ELb0EJPfPiS1_jEEvDpT3_,"axG",@progbits,_Z6kernelI27subtract_right_partial_tileLj256ELj32ELb0EJPfPiS1_jEEvDpT3_,comdat
	.protected	_Z6kernelI27subtract_right_partial_tileLj256ELj32ELb0EJPfPiS1_jEEvDpT3_ ; -- Begin function _Z6kernelI27subtract_right_partial_tileLj256ELj32ELb0EJPfPiS1_jEEvDpT3_
	.globl	_Z6kernelI27subtract_right_partial_tileLj256ELj32ELb0EJPfPiS1_jEEvDpT3_
	.p2align	8
	.type	_Z6kernelI27subtract_right_partial_tileLj256ELj32ELb0EJPfPiS1_jEEvDpT3_,@function
_Z6kernelI27subtract_right_partial_tileLj256ELj32ELb0EJPfPiS1_jEEvDpT3_: ; @_Z6kernelI27subtract_right_partial_tileLj256ELj32ELb0EJPfPiS1_jEEvDpT3_
; %bb.0:
	s_load_dwordx4 s[0:3], s[4:5], 0x0
	s_load_dwordx2 s[8:9], s[4:5], 0x10
	s_lshl_b32 s12, s6, 13
	s_mov_b32 s13, 0
	s_lshl_b64 s[10:11], s[12:13], 2
	s_waitcnt lgkmcnt(0)
	s_add_u32 s0, s0, s10
	s_addc_u32 s1, s1, s11
	v_lshlrev_b32_e32 v63, 2, v0
	v_mov_b32_e32 v1, s1
	v_add_co_u32_e32 v18, vcc, s0, v63
	v_addc_co_u32_e32 v1, vcc, 0, v1, vcc
	global_load_dword v5, v63, s[0:1]
	global_load_dword v4, v63, s[0:1] offset:1024
	global_load_dword v3, v63, s[0:1] offset:2048
	;; [unrolled: 1-line block ×3, first 2 shown]
	s_movk_i32 s0, 0x1000
	v_add_co_u32_e32 v22, vcc, s0, v18
	v_addc_co_u32_e32 v23, vcc, 0, v1, vcc
	s_movk_i32 s0, 0x2000
	v_add_co_u32_e32 v14, vcc, s0, v18
	v_addc_co_u32_e32 v15, vcc, 0, v1, vcc
	;; [unrolled: 3-line block ×5, first 2 shown]
	s_movk_i32 s0, 0x6000
	v_add_co_u32_e32 v38, vcc, s0, v18
	global_load_dword v27, v[14:15], off offset:-4096
	global_load_dword v13, v[14:15], off
	global_load_dword v12, v[14:15], off offset:1024
	global_load_dword v11, v[14:15], off offset:2048
	;; [unrolled: 1-line block ×3, first 2 shown]
	global_load_dword v9, v[34:35], off offset:-4096
	global_load_dword v7, v[34:35], off
	global_load_dword v6, v[34:35], off offset:1024
	v_addc_co_u32_e32 v39, vcc, 0, v1, vcc
	global_load_dword v26, v[22:23], off offset:1024
	global_load_dword v33, v[22:23], off offset:2048
	;; [unrolled: 1-line block ×10, first 2 shown]
	global_load_dword v21, v[38:39], off offset:-4096
	global_load_dword v17, v[38:39], off
	global_load_dword v16, v[38:39], off offset:1024
	global_load_dword v15, v[38:39], off offset:2048
	;; [unrolled: 1-line block ×3, first 2 shown]
	s_movk_i32 s0, 0x7000
	v_add_co_u32_e32 v34, vcc, s0, v18
	v_addc_co_u32_e32 v35, vcc, 0, v1, vcc
	global_load_dword v18, v[36:37], off offset:3072
	global_load_dword v25, v[34:35], off
	global_load_dword v24, v[34:35], off offset:1024
	global_load_dword v23, v[34:35], off offset:2048
	;; [unrolled: 1-line block ×3, first 2 shown]
	s_load_dword s4, s[4:5], 0x18
	s_mov_b32 s7, s13
	s_lshl_b64 s[0:1], s[6:7], 2
	s_add_u32 s0, s2, s0
	s_addc_u32 s1, s3, s1
	s_waitcnt lgkmcnt(0)
	v_cvt_f32_u32_e32 v1, s4
	s_load_dword s2, s[0:1], 0x0
	s_sub_i32 s0, 0, s4
	v_lshlrev_b32_e32 v62, 5, v0
	v_rcp_iflag_f32_e32 v1, v1
	v_or_b32_e32 v34, 2, v62
	v_or_b32_e32 v35, 3, v62
	;; [unrolled: 1-line block ×3, first 2 shown]
	v_mul_f32_e32 v1, 0x4f7ffffe, v1
	v_cvt_u32_f32_e32 v1, v1
	v_or_b32_e32 v37, 5, v62
	v_or_b32_e32 v38, 6, v62
	;; [unrolled: 1-line block ×3, first 2 shown]
	v_readfirstlane_b32 s1, v1
	s_mul_i32 s0, s0, s1
	s_mul_hi_u32 s0, s1, s0
	s_add_i32 s1, s1, s0
	s_lshr_b32 s0, s1, 19
	s_mul_i32 s1, s0, s4
	s_sub_i32 s1, 0x2000, s1
	s_add_i32 s3, s0, 1
	s_sub_i32 s5, s1, s4
	s_cmp_ge_u32 s1, s4
	s_cselect_b32 s0, s3, s0
	s_cselect_b32 s1, s5, s1
	s_add_i32 s3, s0, 1
	s_cmp_ge_u32 s1, s4
	s_cselect_b32 s3, s3, s0
	s_add_i32 s3, s3, 1
	v_or_b32_e32 v1, 1, v62
	v_or_b32_e32 v40, 8, v62
	;; [unrolled: 1-line block ×6, first 2 shown]
	v_add_u32_e32 v67, 32, v62
	s_max_u32 s4, s4, 1
	v_or_b32_e32 v44, 12, v62
	v_or_b32_e32 v45, 13, v62
	;; [unrolled: 1-line block ×20, first 2 shown]
	s_branch .LBB191_2
.LBB191_1:                              ;   in Loop: Header=BB191_2 Depth=1
	s_or_b64 exec, exec, s[0:1]
	v_mov_b32_e32 v70, v3
	v_mov_b32_e32 v71, v4
	v_pk_add_f32 v[70:71], v[4:5], v[70:71] neg_lo:[0,1] neg_hi:[0,1]
	v_cmp_gt_u32_e32 vcc, s2, v1
	v_cndmask_b32_e32 v71, v5, v71, vcc
	v_cmp_gt_u32_e32 vcc, s2, v34
	v_mov_b32_e32 v72, v27
	v_mov_b32_e32 v73, v2
	v_cndmask_b32_e32 v70, v4, v70, vcc
	v_pk_add_f32 v[72:73], v[2:3], v[72:73] neg_lo:[0,1] neg_hi:[0,1]
	v_cmp_gt_u32_e32 vcc, s2, v35
	v_cndmask_b32_e32 v73, v3, v73, vcc
	v_cmp_gt_u32_e32 vcc, s2, v36
	v_mov_b32_e32 v74, v33
	v_mov_b32_e32 v75, v26
	v_cndmask_b32_e32 v72, v2, v72, vcc
	;; [unrolled: 7-line block ×13, first 2 shown]
	v_pk_add_f32 v[96:97], v[14:15], v[96:97] neg_lo:[0,1] neg_hi:[0,1]
	v_cmp_gt_u32_e32 vcc, s2, v60
	v_cmp_gt_u32_e64 s[0:1], s2, v59
	v_mov_b32_e32 v98, v23
	v_mov_b32_e32 v99, v24
	v_cndmask_b32_e64 v97, v15, v97, s[0:1]
	v_cndmask_b32_e32 v96, v14, v96, vcc
	v_pk_add_f32 v[98:99], v[24:25], v[98:99] neg_lo:[0,1] neg_hi:[0,1]
	v_cmp_gt_u32_e32 vcc, s2, v62
	v_cmp_gt_u32_e64 s[0:1], s2, v61
	v_cndmask_b32_e64 v99, v25, v99, s[0:1]
	v_cndmask_b32_e32 v98, v24, v98, vcc
	v_sub_f32_e32 v65, v23, v22
	v_cmp_gt_u32_e32 vcc, s2, v66
	s_add_i32 s0, s3, s2
	v_cndmask_b32_e32 v65, v23, v65, vcc
	s_and_b32 s2, s0, 0x1fff
	s_add_i32 s4, s4, -1
	v_pk_add_f32 v[4:5], v[4:5], v[70:71]
	v_pk_add_f32 v[2:3], v[2:3], v[72:73]
	;; [unrolled: 1-line block ×16, first 2 shown]
	s_cmp_lg_u32 s4, 0
	s_barrier
	s_cbranch_scc0 .LBB191_4
.LBB191_2:                              ; =>This Inner Loop Header: Depth=1
	s_waitcnt lgkmcnt(0)
	v_cmp_gt_u32_e32 vcc, s2, v67
	s_waitcnt vmcnt(0)
	v_pk_mov_b32 v[64:65], v[22:23], v[22:23] op_sel:[0,1]
	ds_write_b32 v63, v5 offset:1024
	s_waitcnt lgkmcnt(0)
	s_barrier
	s_and_saveexec_b64 s[0:1], vcc
	s_cbranch_execz .LBB191_1
; %bb.3:                                ;   in Loop: Header=BB191_2 Depth=1
	ds_read_b32 v64, v68 offset:4
	s_waitcnt lgkmcnt(0)
	v_sub_f32_e32 v64, v22, v64
	s_branch .LBB191_1
.LBB191_4:
	s_add_u32 s0, s8, s10
	s_addc_u32 s1, s9, s11
	v_lshlrev_b32_e32 v0, 2, v0
	v_mov_b32_e32 v1, s1
	v_add_co_u32_e32 v34, vcc, s0, v0
	v_addc_co_u32_e32 v35, vcc, 0, v1, vcc
	global_store_dword v0, v5, s[0:1]
	global_store_dword v0, v4, s[0:1] offset:1024
	global_store_dword v0, v3, s[0:1] offset:2048
	;; [unrolled: 1-line block ×3, first 2 shown]
	v_add_co_u32_e32 v0, vcc, 0x1000, v34
	v_addc_co_u32_e32 v1, vcc, 0, v35, vcc
	global_store_dword v[0:1], v27, off
	global_store_dword v[0:1], v26, off offset:1024
	global_store_dword v[0:1], v33, off offset:2048
	global_store_dword v[0:1], v32, off offset:3072
	v_add_co_u32_e32 v0, vcc, 0x2000, v34
	v_addc_co_u32_e32 v1, vcc, 0, v35, vcc
	global_store_dword v[0:1], v13, off
	global_store_dword v[0:1], v12, off offset:1024
	global_store_dword v[0:1], v11, off offset:2048
	global_store_dword v[0:1], v10, off offset:3072
	;; [unrolled: 6-line block ×7, first 2 shown]
	s_endpgm
	.section	.rodata,"a",@progbits
	.p2align	6, 0x0
	.amdhsa_kernel _Z6kernelI27subtract_right_partial_tileLj256ELj32ELb0EJPfPiS1_jEEvDpT3_
		.amdhsa_group_segment_fixed_size 2048
		.amdhsa_private_segment_fixed_size 0
		.amdhsa_kernarg_size 28
		.amdhsa_user_sgpr_count 6
		.amdhsa_user_sgpr_private_segment_buffer 1
		.amdhsa_user_sgpr_dispatch_ptr 0
		.amdhsa_user_sgpr_queue_ptr 0
		.amdhsa_user_sgpr_kernarg_segment_ptr 1
		.amdhsa_user_sgpr_dispatch_id 0
		.amdhsa_user_sgpr_flat_scratch_init 0
		.amdhsa_user_sgpr_kernarg_preload_length 0
		.amdhsa_user_sgpr_kernarg_preload_offset 0
		.amdhsa_user_sgpr_private_segment_size 0
		.amdhsa_uses_dynamic_stack 0
		.amdhsa_system_sgpr_private_segment_wavefront_offset 0
		.amdhsa_system_sgpr_workgroup_id_x 1
		.amdhsa_system_sgpr_workgroup_id_y 0
		.amdhsa_system_sgpr_workgroup_id_z 0
		.amdhsa_system_sgpr_workgroup_info 0
		.amdhsa_system_vgpr_workitem_id 0
		.amdhsa_next_free_vgpr 100
		.amdhsa_next_free_sgpr 14
		.amdhsa_accum_offset 100
		.amdhsa_reserve_vcc 1
		.amdhsa_reserve_flat_scratch 0
		.amdhsa_float_round_mode_32 0
		.amdhsa_float_round_mode_16_64 0
		.amdhsa_float_denorm_mode_32 3
		.amdhsa_float_denorm_mode_16_64 3
		.amdhsa_dx10_clamp 1
		.amdhsa_ieee_mode 1
		.amdhsa_fp16_overflow 0
		.amdhsa_tg_split 0
		.amdhsa_exception_fp_ieee_invalid_op 0
		.amdhsa_exception_fp_denorm_src 0
		.amdhsa_exception_fp_ieee_div_zero 0
		.amdhsa_exception_fp_ieee_overflow 0
		.amdhsa_exception_fp_ieee_underflow 0
		.amdhsa_exception_fp_ieee_inexact 0
		.amdhsa_exception_int_div_zero 0
	.end_amdhsa_kernel
	.section	.text._Z6kernelI27subtract_right_partial_tileLj256ELj32ELb0EJPfPiS1_jEEvDpT3_,"axG",@progbits,_Z6kernelI27subtract_right_partial_tileLj256ELj32ELb0EJPfPiS1_jEEvDpT3_,comdat
.Lfunc_end191:
	.size	_Z6kernelI27subtract_right_partial_tileLj256ELj32ELb0EJPfPiS1_jEEvDpT3_, .Lfunc_end191-_Z6kernelI27subtract_right_partial_tileLj256ELj32ELb0EJPfPiS1_jEEvDpT3_
                                        ; -- End function
	.section	.AMDGPU.csdata,"",@progbits
; Kernel info:
; codeLenInByte = 1772
; NumSgprs: 18
; NumVgprs: 100
; NumAgprs: 0
; TotalNumVgprs: 100
; ScratchSize: 0
; MemoryBound: 0
; FloatMode: 240
; IeeeMode: 1
; LDSByteSize: 2048 bytes/workgroup (compile time only)
; SGPRBlocks: 2
; VGPRBlocks: 12
; NumSGPRsForWavesPerEU: 18
; NumVGPRsForWavesPerEU: 100
; AccumOffset: 100
; Occupancy: 4
; WaveLimiterHint : 1
; COMPUTE_PGM_RSRC2:SCRATCH_EN: 0
; COMPUTE_PGM_RSRC2:USER_SGPR: 6
; COMPUTE_PGM_RSRC2:TRAP_HANDLER: 0
; COMPUTE_PGM_RSRC2:TGID_X_EN: 1
; COMPUTE_PGM_RSRC2:TGID_Y_EN: 0
; COMPUTE_PGM_RSRC2:TGID_Z_EN: 0
; COMPUTE_PGM_RSRC2:TIDIG_COMP_CNT: 0
; COMPUTE_PGM_RSRC3_GFX90A:ACCUM_OFFSET: 24
; COMPUTE_PGM_RSRC3_GFX90A:TG_SPLIT: 0
	.section	.text._Z6kernelI27subtract_right_partial_tileLj256ELj1ELb0EJPaPiS1_jEEvDpT3_,"axG",@progbits,_Z6kernelI27subtract_right_partial_tileLj256ELj1ELb0EJPaPiS1_jEEvDpT3_,comdat
	.protected	_Z6kernelI27subtract_right_partial_tileLj256ELj1ELb0EJPaPiS1_jEEvDpT3_ ; -- Begin function _Z6kernelI27subtract_right_partial_tileLj256ELj1ELb0EJPaPiS1_jEEvDpT3_
	.globl	_Z6kernelI27subtract_right_partial_tileLj256ELj1ELb0EJPaPiS1_jEEvDpT3_
	.p2align	8
	.type	_Z6kernelI27subtract_right_partial_tileLj256ELj1ELb0EJPaPiS1_jEEvDpT3_,@function
_Z6kernelI27subtract_right_partial_tileLj256ELj1ELb0EJPaPiS1_jEEvDpT3_: ; @_Z6kernelI27subtract_right_partial_tileLj256ELj1ELb0EJPaPiS1_jEEvDpT3_
; %bb.0:
	s_load_dwordx4 s[12:15], s[4:5], 0x0
	s_load_dwordx2 s[0:1], s[4:5], 0x10
	s_lshl_b32 s8, s6, 8
	s_load_dword s9, s[4:5], 0x18
	s_mov_b32 s7, 0
	s_waitcnt lgkmcnt(0)
	s_add_u32 s2, s12, s8
	s_addc_u32 s3, s13, 0
	global_load_ubyte v1, v0, s[2:3]
	v_cvt_f32_u32_e32 v2, s9
	s_lshl_b64 s[2:3], s[6:7], 2
	s_add_u32 s2, s14, s2
	s_addc_u32 s3, s15, s3
	v_rcp_iflag_f32_e32 v2, v2
	s_load_dword s4, s[2:3], 0x0
	s_sub_i32 s2, 0, s9
	v_mul_f32_e32 v2, 0x4f7ffffe, v2
	v_cvt_u32_f32_e32 v2, v2
	v_readfirstlane_b32 s3, v2
	s_mul_i32 s2, s2, s3
	s_mul_hi_u32 s2, s3, s2
	s_add_i32 s3, s3, s2
	s_lshr_b32 s2, s3, 24
	s_mul_i32 s3, s2, s9
	s_sub_i32 s3, 0x100, s3
	s_add_i32 s5, s2, 1
	s_sub_i32 s6, s3, s9
	s_cmp_ge_u32 s3, s9
	s_cselect_b32 s2, s5, s2
	s_cselect_b32 s3, s6, s3
	s_add_i32 s5, s2, 1
	s_cmp_ge_u32 s3, s9
	s_cselect_b32 s5, s5, s2
	s_add_i32 s5, s5, 1
	v_add_u32_e32 v2, 1, v0
	s_max_u32 s6, s9, 1
	s_branch .LBB192_2
.LBB192_1:                              ;   in Loop: Header=BB192_2 Depth=1
	s_or_b64 exec, exec, s[2:3]
	s_add_i32 s2, s5, s4
	s_and_b32 s4, s2, 0xff
	s_add_i32 s6, s6, -1
	v_add_u16_e32 v1, v3, v1
	s_cmp_lg_u32 s6, 0
	s_barrier
	s_cbranch_scc0 .LBB192_4
.LBB192_2:                              ; =>This Inner Loop Header: Depth=1
	s_waitcnt lgkmcnt(0)
	v_cmp_gt_u32_e32 vcc, s4, v2
	s_waitcnt vmcnt(0)
	v_mov_b32_e32 v3, v1
	ds_write_b8 v0, v1 offset:256
	s_waitcnt lgkmcnt(0)
	s_barrier
	s_and_saveexec_b64 s[2:3], vcc
	s_cbranch_execz .LBB192_1
; %bb.3:                                ;   in Loop: Header=BB192_2 Depth=1
	ds_read_u8 v3, v0 offset:257
	s_waitcnt lgkmcnt(0)
	v_sub_u16_e32 v3, v1, v3
	s_branch .LBB192_1
.LBB192_4:
	s_add_u32 s0, s0, s8
	s_addc_u32 s1, s1, 0
	v_mov_b32_e32 v3, s1
	v_add_co_u32_e32 v2, vcc, s0, v0
	v_addc_co_u32_e32 v3, vcc, 0, v3, vcc
	global_store_byte v[2:3], v1, off
	s_endpgm
	.section	.rodata,"a",@progbits
	.p2align	6, 0x0
	.amdhsa_kernel _Z6kernelI27subtract_right_partial_tileLj256ELj1ELb0EJPaPiS1_jEEvDpT3_
		.amdhsa_group_segment_fixed_size 512
		.amdhsa_private_segment_fixed_size 0
		.amdhsa_kernarg_size 28
		.amdhsa_user_sgpr_count 6
		.amdhsa_user_sgpr_private_segment_buffer 1
		.amdhsa_user_sgpr_dispatch_ptr 0
		.amdhsa_user_sgpr_queue_ptr 0
		.amdhsa_user_sgpr_kernarg_segment_ptr 1
		.amdhsa_user_sgpr_dispatch_id 0
		.amdhsa_user_sgpr_flat_scratch_init 0
		.amdhsa_user_sgpr_kernarg_preload_length 0
		.amdhsa_user_sgpr_kernarg_preload_offset 0
		.amdhsa_user_sgpr_private_segment_size 0
		.amdhsa_uses_dynamic_stack 0
		.amdhsa_system_sgpr_private_segment_wavefront_offset 0
		.amdhsa_system_sgpr_workgroup_id_x 1
		.amdhsa_system_sgpr_workgroup_id_y 0
		.amdhsa_system_sgpr_workgroup_id_z 0
		.amdhsa_system_sgpr_workgroup_info 0
		.amdhsa_system_vgpr_workitem_id 0
		.amdhsa_next_free_vgpr 4
		.amdhsa_next_free_sgpr 16
		.amdhsa_accum_offset 4
		.amdhsa_reserve_vcc 1
		.amdhsa_reserve_flat_scratch 0
		.amdhsa_float_round_mode_32 0
		.amdhsa_float_round_mode_16_64 0
		.amdhsa_float_denorm_mode_32 3
		.amdhsa_float_denorm_mode_16_64 3
		.amdhsa_dx10_clamp 1
		.amdhsa_ieee_mode 1
		.amdhsa_fp16_overflow 0
		.amdhsa_tg_split 0
		.amdhsa_exception_fp_ieee_invalid_op 0
		.amdhsa_exception_fp_denorm_src 0
		.amdhsa_exception_fp_ieee_div_zero 0
		.amdhsa_exception_fp_ieee_overflow 0
		.amdhsa_exception_fp_ieee_underflow 0
		.amdhsa_exception_fp_ieee_inexact 0
		.amdhsa_exception_int_div_zero 0
	.end_amdhsa_kernel
	.section	.text._Z6kernelI27subtract_right_partial_tileLj256ELj1ELb0EJPaPiS1_jEEvDpT3_,"axG",@progbits,_Z6kernelI27subtract_right_partial_tileLj256ELj1ELb0EJPaPiS1_jEEvDpT3_,comdat
.Lfunc_end192:
	.size	_Z6kernelI27subtract_right_partial_tileLj256ELj1ELb0EJPaPiS1_jEEvDpT3_, .Lfunc_end192-_Z6kernelI27subtract_right_partial_tileLj256ELj1ELb0EJPaPiS1_jEEvDpT3_
                                        ; -- End function
	.section	.AMDGPU.csdata,"",@progbits
; Kernel info:
; codeLenInByte = 304
; NumSgprs: 20
; NumVgprs: 4
; NumAgprs: 0
; TotalNumVgprs: 4
; ScratchSize: 0
; MemoryBound: 0
; FloatMode: 240
; IeeeMode: 1
; LDSByteSize: 512 bytes/workgroup (compile time only)
; SGPRBlocks: 2
; VGPRBlocks: 0
; NumSGPRsForWavesPerEU: 20
; NumVGPRsForWavesPerEU: 4
; AccumOffset: 4
; Occupancy: 8
; WaveLimiterHint : 0
; COMPUTE_PGM_RSRC2:SCRATCH_EN: 0
; COMPUTE_PGM_RSRC2:USER_SGPR: 6
; COMPUTE_PGM_RSRC2:TRAP_HANDLER: 0
; COMPUTE_PGM_RSRC2:TGID_X_EN: 1
; COMPUTE_PGM_RSRC2:TGID_Y_EN: 0
; COMPUTE_PGM_RSRC2:TGID_Z_EN: 0
; COMPUTE_PGM_RSRC2:TIDIG_COMP_CNT: 0
; COMPUTE_PGM_RSRC3_GFX90A:ACCUM_OFFSET: 0
; COMPUTE_PGM_RSRC3_GFX90A:TG_SPLIT: 0
	.section	.text._Z6kernelI27subtract_right_partial_tileLj256ELj3ELb0EJPaPiS1_jEEvDpT3_,"axG",@progbits,_Z6kernelI27subtract_right_partial_tileLj256ELj3ELb0EJPaPiS1_jEEvDpT3_,comdat
	.protected	_Z6kernelI27subtract_right_partial_tileLj256ELj3ELb0EJPaPiS1_jEEvDpT3_ ; -- Begin function _Z6kernelI27subtract_right_partial_tileLj256ELj3ELb0EJPaPiS1_jEEvDpT3_
	.globl	_Z6kernelI27subtract_right_partial_tileLj256ELj3ELb0EJPaPiS1_jEEvDpT3_
	.p2align	8
	.type	_Z6kernelI27subtract_right_partial_tileLj256ELj3ELb0EJPaPiS1_jEEvDpT3_,@function
_Z6kernelI27subtract_right_partial_tileLj256ELj3ELb0EJPaPiS1_jEEvDpT3_: ; @_Z6kernelI27subtract_right_partial_tileLj256ELj3ELb0EJPaPiS1_jEEvDpT3_
; %bb.0:
	s_load_dwordx4 s[0:3], s[4:5], 0x0
	s_load_dwordx2 s[8:9], s[4:5], 0x10
	s_mul_i32 s10, s6, 0x300
	s_load_dword s4, s[4:5], 0x18
	s_mov_b32 s7, 0
	s_waitcnt lgkmcnt(0)
	s_add_u32 s0, s0, s10
	s_addc_u32 s1, s1, 0
	global_load_ubyte v4, v0, s[0:1] offset:256
	global_load_ubyte v5, v0, s[0:1]
	global_load_ubyte v6, v0, s[0:1] offset:512
	v_cvt_f32_u32_e32 v3, s4
	s_lshl_b64 s[0:1], s[6:7], 2
	s_add_u32 s0, s2, s0
	s_addc_u32 s1, s3, s1
	v_rcp_iflag_f32_e32 v7, v3
	s_sub_i32 s3, 0, s4
	s_load_dword s2, s[0:1], 0x0
	v_mad_u32_u24 v1, v0, 3, 1
	v_mul_f32_e32 v7, 0x4f7ffffe, v7
	v_cvt_u32_f32_e32 v7, v7
	v_mad_u32_u24 v2, v0, 3, 2
	v_mad_u32_u24 v3, v0, 3, 3
	v_readfirstlane_b32 s0, v7
	s_mul_i32 s3, s3, s0
	s_mul_hi_u32 s1, s0, s3
	s_add_i32 s0, s0, s1
	s_mul_hi_u32 s0, s0, 0x300
	s_mul_i32 s1, s0, s4
	s_sub_i32 s1, 0x300, s1
	s_add_i32 s3, s0, 1
	s_sub_i32 s5, s1, s4
	s_cmp_ge_u32 s1, s4
	s_cselect_b32 s0, s3, s0
	s_cselect_b32 s1, s5, s1
	s_add_i32 s3, s0, 1
	s_cmp_ge_u32 s1, s4
	s_cselect_b32 s0, s3, s0
	s_max_u32 s3, s4, 1
	s_add_i32 s4, s0, 1
	s_mov_b32 s5, 0xff0000
	s_waitcnt vmcnt(2)
	v_lshlrev_b16_e32 v4, 8, v4
	s_waitcnt vmcnt(1)
	v_or_b32_e32 v4, v5, v4
	v_and_b32_e32 v4, 0xffff, v4
	s_waitcnt vmcnt(0)
	v_lshl_or_b32 v4, v6, 16, v4
                                        ; implicit-def: $vgpr6
	s_branch .LBB193_2
.LBB193_1:                              ;   in Loop: Header=BB193_2 Depth=1
	s_or_b64 exec, exec, s[0:1]
	s_add_i32 s0, s4, s2
	s_mul_hi_u32 s1, s0, 0xaaaaaaab
	v_add_u16_e32 v5, v9, v5
	v_add_u16_e32 v7, v6, v7
	s_lshr_b32 s1, s1, 9
	v_add_u16_e32 v8, v8, v4
	v_lshlrev_b16_e32 v4, 8, v5
	v_and_b32_e32 v9, 0xff, v7
	s_mulk_i32 s1, 0x300
	v_or_b32_sdwa v4, v8, v4 dst_sel:DWORD dst_unused:UNUSED_PAD src0_sel:BYTE_0 src1_sel:DWORD
	v_lshlrev_b32_e32 v9, 16, v9
	s_sub_i32 s2, s0, s1
	s_add_i32 s3, s3, -1
	v_or_b32_sdwa v4, v4, v9 dst_sel:DWORD dst_unused:UNUSED_PAD src0_sel:WORD_0 src1_sel:DWORD
	s_cmp_lg_u32 s3, 0
	s_barrier
	s_cbranch_scc0 .LBB193_4
.LBB193_2:                              ; =>This Inner Loop Header: Depth=1
	v_lshrrev_b32_e32 v5, 8, v4
	v_sub_u16_e32 v8, v4, v5
	s_waitcnt lgkmcnt(0)
	v_cmp_gt_u32_e32 vcc, s2, v1
	v_and_b32_e32 v7, 0xffffff00, v4
	v_cndmask_b32_e32 v8, v4, v8, vcc
	v_or_b32_sdwa v9, v8, v7 dst_sel:DWORD dst_unused:UNUSED_PAD src0_sel:BYTE_0 src1_sel:DWORD
	v_lshrrev_b32_e32 v7, 16, v4
	v_sub_u16_sdwa v10, v5, v7 dst_sel:BYTE_1 dst_unused:UNUSED_PAD src0_sel:DWORD src1_sel:DWORD
	v_or_b32_sdwa v8, v8, v10 dst_sel:DWORD dst_unused:UNUSED_PAD src0_sel:BYTE_0 src1_sel:DWORD
	v_and_b32_e32 v6, 0xff, v6
	v_and_b32_e32 v9, 0xffff, v9
	;; [unrolled: 1-line block ×3, first 2 shown]
	v_cmp_gt_u32_e32 vcc, s2, v2
	v_lshlrev_b32_e32 v6, 16, v6
	v_cndmask_b32_e32 v8, v9, v8, vcc
	v_or_b32_e32 v6, v8, v6
	v_lshrrev_b32_e32 v9, 8, v6
	v_cmp_gt_u32_e32 vcc, s2, v3
	v_mov_b32_e32 v6, v7
	ds_write_b8 v0, v4 offset:256
	s_waitcnt lgkmcnt(0)
	s_barrier
	s_and_saveexec_b64 s[0:1], vcc
	s_cbranch_execz .LBB193_1
; %bb.3:                                ;   in Loop: Header=BB193_2 Depth=1
	ds_read_u8 v6, v0 offset:257
	v_lshlrev_b16_e32 v9, 8, v9
	v_or_b32_sdwa v8, v8, v9 dst_sel:DWORD dst_unused:UNUSED_PAD src0_sel:BYTE_0 src1_sel:DWORD
	v_and_b32_e32 v8, 0xffff, v8
	v_and_or_b32 v8, v4, s5, v8
	s_waitcnt lgkmcnt(0)
	v_sub_u16_e32 v6, v7, v6
	v_lshrrev_b32_e32 v9, 8, v8
	s_branch .LBB193_1
.LBB193_4:
	s_add_u32 s0, s8, s10
	s_addc_u32 s1, s9, 0
	v_mov_b32_e32 v1, s1
	v_add_co_u32_e32 v0, vcc, s0, v0
	v_addc_co_u32_e32 v1, vcc, 0, v1, vcc
	global_store_byte v[0:1], v8, off
	global_store_byte v[0:1], v5, off offset:256
	global_store_byte v[0:1], v7, off offset:512
	s_endpgm
	.section	.rodata,"a",@progbits
	.p2align	6, 0x0
	.amdhsa_kernel _Z6kernelI27subtract_right_partial_tileLj256ELj3ELb0EJPaPiS1_jEEvDpT3_
		.amdhsa_group_segment_fixed_size 512
		.amdhsa_private_segment_fixed_size 0
		.amdhsa_kernarg_size 28
		.amdhsa_user_sgpr_count 6
		.amdhsa_user_sgpr_private_segment_buffer 1
		.amdhsa_user_sgpr_dispatch_ptr 0
		.amdhsa_user_sgpr_queue_ptr 0
		.amdhsa_user_sgpr_kernarg_segment_ptr 1
		.amdhsa_user_sgpr_dispatch_id 0
		.amdhsa_user_sgpr_flat_scratch_init 0
		.amdhsa_user_sgpr_kernarg_preload_length 0
		.amdhsa_user_sgpr_kernarg_preload_offset 0
		.amdhsa_user_sgpr_private_segment_size 0
		.amdhsa_uses_dynamic_stack 0
		.amdhsa_system_sgpr_private_segment_wavefront_offset 0
		.amdhsa_system_sgpr_workgroup_id_x 1
		.amdhsa_system_sgpr_workgroup_id_y 0
		.amdhsa_system_sgpr_workgroup_id_z 0
		.amdhsa_system_sgpr_workgroup_info 0
		.amdhsa_system_vgpr_workitem_id 0
		.amdhsa_next_free_vgpr 11
		.amdhsa_next_free_sgpr 11
		.amdhsa_accum_offset 12
		.amdhsa_reserve_vcc 1
		.amdhsa_reserve_flat_scratch 0
		.amdhsa_float_round_mode_32 0
		.amdhsa_float_round_mode_16_64 0
		.amdhsa_float_denorm_mode_32 3
		.amdhsa_float_denorm_mode_16_64 3
		.amdhsa_dx10_clamp 1
		.amdhsa_ieee_mode 1
		.amdhsa_fp16_overflow 0
		.amdhsa_tg_split 0
		.amdhsa_exception_fp_ieee_invalid_op 0
		.amdhsa_exception_fp_denorm_src 0
		.amdhsa_exception_fp_ieee_div_zero 0
		.amdhsa_exception_fp_ieee_overflow 0
		.amdhsa_exception_fp_ieee_underflow 0
		.amdhsa_exception_fp_ieee_inexact 0
		.amdhsa_exception_int_div_zero 0
	.end_amdhsa_kernel
	.section	.text._Z6kernelI27subtract_right_partial_tileLj256ELj3ELb0EJPaPiS1_jEEvDpT3_,"axG",@progbits,_Z6kernelI27subtract_right_partial_tileLj256ELj3ELb0EJPaPiS1_jEEvDpT3_,comdat
.Lfunc_end193:
	.size	_Z6kernelI27subtract_right_partial_tileLj256ELj3ELb0EJPaPiS1_jEEvDpT3_, .Lfunc_end193-_Z6kernelI27subtract_right_partial_tileLj256ELj3ELb0EJPaPiS1_jEEvDpT3_
                                        ; -- End function
	.section	.AMDGPU.csdata,"",@progbits
; Kernel info:
; codeLenInByte = 584
; NumSgprs: 15
; NumVgprs: 11
; NumAgprs: 0
; TotalNumVgprs: 11
; ScratchSize: 0
; MemoryBound: 0
; FloatMode: 240
; IeeeMode: 1
; LDSByteSize: 512 bytes/workgroup (compile time only)
; SGPRBlocks: 1
; VGPRBlocks: 1
; NumSGPRsForWavesPerEU: 15
; NumVGPRsForWavesPerEU: 11
; AccumOffset: 12
; Occupancy: 8
; WaveLimiterHint : 1
; COMPUTE_PGM_RSRC2:SCRATCH_EN: 0
; COMPUTE_PGM_RSRC2:USER_SGPR: 6
; COMPUTE_PGM_RSRC2:TRAP_HANDLER: 0
; COMPUTE_PGM_RSRC2:TGID_X_EN: 1
; COMPUTE_PGM_RSRC2:TGID_Y_EN: 0
; COMPUTE_PGM_RSRC2:TGID_Z_EN: 0
; COMPUTE_PGM_RSRC2:TIDIG_COMP_CNT: 0
; COMPUTE_PGM_RSRC3_GFX90A:ACCUM_OFFSET: 2
; COMPUTE_PGM_RSRC3_GFX90A:TG_SPLIT: 0
	.section	.text._Z6kernelI27subtract_right_partial_tileLj256ELj4ELb0EJPaPiS1_jEEvDpT3_,"axG",@progbits,_Z6kernelI27subtract_right_partial_tileLj256ELj4ELb0EJPaPiS1_jEEvDpT3_,comdat
	.protected	_Z6kernelI27subtract_right_partial_tileLj256ELj4ELb0EJPaPiS1_jEEvDpT3_ ; -- Begin function _Z6kernelI27subtract_right_partial_tileLj256ELj4ELb0EJPaPiS1_jEEvDpT3_
	.globl	_Z6kernelI27subtract_right_partial_tileLj256ELj4ELb0EJPaPiS1_jEEvDpT3_
	.p2align	8
	.type	_Z6kernelI27subtract_right_partial_tileLj256ELj4ELb0EJPaPiS1_jEEvDpT3_,@function
_Z6kernelI27subtract_right_partial_tileLj256ELj4ELb0EJPaPiS1_jEEvDpT3_: ; @_Z6kernelI27subtract_right_partial_tileLj256ELj4ELb0EJPaPiS1_jEEvDpT3_
; %bb.0:
	s_load_dwordx4 s[0:3], s[4:5], 0x0
	s_load_dwordx2 s[8:9], s[4:5], 0x10
	s_lshl_b32 s10, s6, 10
	s_load_dword s11, s[4:5], 0x18
	s_mov_b32 s7, 0
	s_waitcnt lgkmcnt(0)
	s_add_u32 s0, s0, s10
	s_addc_u32 s1, s1, 0
	global_load_ubyte v5, v0, s[0:1] offset:256
	global_load_ubyte v6, v0, s[0:1] offset:768
	global_load_ubyte v7, v0, s[0:1]
	global_load_ubyte v8, v0, s[0:1] offset:512
	v_cvt_f32_u32_e32 v9, s11
	s_lshl_b64 s[0:1], s[6:7], 2
	s_add_u32 s0, s2, s0
	s_addc_u32 s1, s3, s1
	v_rcp_iflag_f32_e32 v9, v9
	s_sub_i32 s3, 0, s11
	s_load_dword s2, s[0:1], 0x0
	v_lshlrev_b32_e32 v4, 2, v0
	v_mul_f32_e32 v9, 0x4f7ffffe, v9
	v_cvt_u32_f32_e32 v9, v9
	s_mov_b32 s4, 0xffff
	s_movk_i32 s5, 0xff00
	v_or_b32_e32 v1, 1, v4
	v_readfirstlane_b32 s0, v9
	s_mul_i32 s3, s3, s0
	s_mul_hi_u32 s1, s0, s3
	s_add_i32 s0, s0, s1
	s_lshr_b32 s0, s0, 22
	s_mul_i32 s1, s0, s11
	s_sub_i32 s1, 0x400, s1
	s_add_i32 s3, s0, 1
	s_sub_i32 s6, s1, s11
	s_cmp_ge_u32 s1, s11
	s_cselect_b32 s0, s3, s0
	s_cselect_b32 s1, s6, s1
	s_add_i32 s3, s0, 1
	s_cmp_ge_u32 s1, s11
	s_cselect_b32 s6, s3, s0
	v_or_b32_e32 v2, 2, v4
	v_or_b32_e32 v3, 3, v4
	v_add_u32_e32 v4, 4, v4
	s_max_u32 s3, s11, 1
	s_add_i32 s6, s6, 1
	s_movk_i32 s7, 0xff
                                        ; implicit-def: $vgpr9
	s_waitcnt vmcnt(3)
	v_lshlrev_b16_e32 v5, 8, v5
	s_waitcnt vmcnt(2)
	v_lshlrev_b16_e32 v6, 8, v6
	s_waitcnt vmcnt(1)
	v_or_b32_e32 v5, v7, v5
	s_waitcnt vmcnt(0)
	v_or_b32_sdwa v6, v8, v6 dst_sel:WORD_1 dst_unused:UNUSED_PAD src0_sel:DWORD src1_sel:DWORD
	v_or_b32_sdwa v5, v5, v6 dst_sel:DWORD dst_unused:UNUSED_PAD src0_sel:WORD_0 src1_sel:DWORD
	s_branch .LBB194_2
.LBB194_1:                              ;   in Loop: Header=BB194_2 Depth=1
	s_or_b64 exec, exec, s[0:1]
	v_add_u16_e32 v8, v12, v8
	v_add_u16_e32 v6, v9, v6
	;; [unrolled: 1-line block ×3, first 2 shown]
	v_add_u16_sdwa v7, v7, v5 dst_sel:DWORD dst_unused:UNUSED_PAD src0_sel:DWORD src1_sel:WORD_1
	v_lshlrev_b16_e32 v5, 8, v8
	v_lshlrev_b16_e32 v11, 8, v6
	s_add_i32 s0, s6, s2
	v_or_b32_sdwa v5, v10, v5 dst_sel:DWORD dst_unused:UNUSED_PAD src0_sel:BYTE_0 src1_sel:DWORD
	v_or_b32_sdwa v11, v7, v11 dst_sel:WORD_1 dst_unused:UNUSED_PAD src0_sel:BYTE_0 src1_sel:DWORD
	s_and_b32 s2, s0, 0x3ff
	s_add_i32 s3, s3, -1
	v_or_b32_sdwa v5, v5, v11 dst_sel:DWORD dst_unused:UNUSED_PAD src0_sel:WORD_0 src1_sel:DWORD
	s_cmp_lg_u32 s3, 0
	s_barrier
	s_cbranch_scc0 .LBB194_4
.LBB194_2:                              ; =>This Inner Loop Header: Depth=1
	v_lshrrev_b32_e32 v6, 24, v5
	v_and_b32_sdwa v7, v5, s7 dst_sel:DWORD dst_unused:UNUSED_PAD src0_sel:WORD_1 src1_sel:DWORD
	v_lshlrev_b16_e32 v8, 8, v9
	v_sub_u16_sdwa v9, v5, v6 dst_sel:DWORD dst_unused:UNUSED_PAD src0_sel:WORD_1 src1_sel:DWORD
	v_or_b32_sdwa v9, v9, v8 dst_sel:DWORD dst_unused:UNUSED_PAD src0_sel:BYTE_0 src1_sel:DWORD
	v_or_b32_e32 v7, v7, v8
	s_waitcnt lgkmcnt(0)
	v_cmp_gt_u32_e32 vcc, s2, v3
	v_lshrrev_b32_e32 v8, 8, v5
	v_cndmask_b32_e32 v7, v7, v9, vcc
	v_sub_u16_e32 v10, v5, v8
	v_cmp_gt_u32_e32 vcc, s2, v1
	v_and_b32_e32 v9, 0xffffff00, v5
	v_cndmask_b32_e32 v10, v5, v10, vcc
	v_sub_u16_sdwa v11, v8, v5 dst_sel:BYTE_1 dst_unused:UNUSED_PAD src0_sel:DWORD src1_sel:WORD_1
	v_or_b32_sdwa v9, v10, v9 dst_sel:DWORD dst_unused:UNUSED_PAD src0_sel:BYTE_0 src1_sel:DWORD
	v_or_b32_sdwa v10, v10, v11 dst_sel:DWORD dst_unused:UNUSED_PAD src0_sel:BYTE_0 src1_sel:DWORD
	v_and_b32_e32 v9, 0xffff, v9
	v_and_b32_e32 v10, 0xffff, v10
	v_cmp_gt_u32_e32 vcc, s2, v2
	v_cndmask_b32_e32 v10, v9, v10, vcc
	v_lshl_or_b32 v11, v7, 16, v10
	v_lshrrev_b32_e32 v12, 8, v11
	v_cmp_gt_u32_e32 vcc, s2, v4
	v_mov_b32_e32 v9, v6
	ds_write_b8 v0, v5 offset:256
	s_waitcnt lgkmcnt(0)
	s_barrier
	s_and_saveexec_b64 s[0:1], vcc
	s_cbranch_execz .LBB194_1
; %bb.3:                                ;   in Loop: Header=BB194_2 Depth=1
	ds_read_u8 v9, v0 offset:257
	v_and_b32_sdwa v10, v5, s5 dst_sel:DWORD dst_unused:UNUSED_PAD src0_sel:WORD_1 src1_sel:DWORD
	v_or_b32_sdwa v7, v7, v10 dst_sel:WORD_1 dst_unused:UNUSED_PAD src0_sel:BYTE_0 src1_sel:DWORD
	v_and_or_b32 v10, v11, s4, v7
	v_lshrrev_b32_e32 v7, 16, v10
	s_waitcnt lgkmcnt(0)
	v_sub_u16_e32 v9, v6, v9
	v_lshrrev_b32_e32 v12, 8, v10
	s_branch .LBB194_1
.LBB194_4:
	s_add_u32 s0, s8, s10
	s_addc_u32 s1, s9, 0
	v_mov_b32_e32 v1, s1
	v_add_co_u32_e32 v0, vcc, s0, v0
	v_addc_co_u32_e32 v1, vcc, 0, v1, vcc
	global_store_byte v[0:1], v10, off
	global_store_byte v[0:1], v8, off offset:256
	global_store_byte v[0:1], v7, off offset:512
	;; [unrolled: 1-line block ×3, first 2 shown]
	s_endpgm
	.section	.rodata,"a",@progbits
	.p2align	6, 0x0
	.amdhsa_kernel _Z6kernelI27subtract_right_partial_tileLj256ELj4ELb0EJPaPiS1_jEEvDpT3_
		.amdhsa_group_segment_fixed_size 512
		.amdhsa_private_segment_fixed_size 0
		.amdhsa_kernarg_size 28
		.amdhsa_user_sgpr_count 6
		.amdhsa_user_sgpr_private_segment_buffer 1
		.amdhsa_user_sgpr_dispatch_ptr 0
		.amdhsa_user_sgpr_queue_ptr 0
		.amdhsa_user_sgpr_kernarg_segment_ptr 1
		.amdhsa_user_sgpr_dispatch_id 0
		.amdhsa_user_sgpr_flat_scratch_init 0
		.amdhsa_user_sgpr_kernarg_preload_length 0
		.amdhsa_user_sgpr_kernarg_preload_offset 0
		.amdhsa_user_sgpr_private_segment_size 0
		.amdhsa_uses_dynamic_stack 0
		.amdhsa_system_sgpr_private_segment_wavefront_offset 0
		.amdhsa_system_sgpr_workgroup_id_x 1
		.amdhsa_system_sgpr_workgroup_id_y 0
		.amdhsa_system_sgpr_workgroup_id_z 0
		.amdhsa_system_sgpr_workgroup_info 0
		.amdhsa_system_vgpr_workitem_id 0
		.amdhsa_next_free_vgpr 13
		.amdhsa_next_free_sgpr 12
		.amdhsa_accum_offset 16
		.amdhsa_reserve_vcc 1
		.amdhsa_reserve_flat_scratch 0
		.amdhsa_float_round_mode_32 0
		.amdhsa_float_round_mode_16_64 0
		.amdhsa_float_denorm_mode_32 3
		.amdhsa_float_denorm_mode_16_64 3
		.amdhsa_dx10_clamp 1
		.amdhsa_ieee_mode 1
		.amdhsa_fp16_overflow 0
		.amdhsa_tg_split 0
		.amdhsa_exception_fp_ieee_invalid_op 0
		.amdhsa_exception_fp_denorm_src 0
		.amdhsa_exception_fp_ieee_div_zero 0
		.amdhsa_exception_fp_ieee_overflow 0
		.amdhsa_exception_fp_ieee_underflow 0
		.amdhsa_exception_fp_ieee_inexact 0
		.amdhsa_exception_int_div_zero 0
	.end_amdhsa_kernel
	.section	.text._Z6kernelI27subtract_right_partial_tileLj256ELj4ELb0EJPaPiS1_jEEvDpT3_,"axG",@progbits,_Z6kernelI27subtract_right_partial_tileLj256ELj4ELb0EJPaPiS1_jEEvDpT3_,comdat
.Lfunc_end194:
	.size	_Z6kernelI27subtract_right_partial_tileLj256ELj4ELb0EJPaPiS1_jEEvDpT3_, .Lfunc_end194-_Z6kernelI27subtract_right_partial_tileLj256ELj4ELb0EJPaPiS1_jEEvDpT3_
                                        ; -- End function
	.section	.AMDGPU.csdata,"",@progbits
; Kernel info:
; codeLenInByte = 632
; NumSgprs: 16
; NumVgprs: 13
; NumAgprs: 0
; TotalNumVgprs: 13
; ScratchSize: 0
; MemoryBound: 0
; FloatMode: 240
; IeeeMode: 1
; LDSByteSize: 512 bytes/workgroup (compile time only)
; SGPRBlocks: 1
; VGPRBlocks: 1
; NumSGPRsForWavesPerEU: 16
; NumVGPRsForWavesPerEU: 13
; AccumOffset: 16
; Occupancy: 8
; WaveLimiterHint : 1
; COMPUTE_PGM_RSRC2:SCRATCH_EN: 0
; COMPUTE_PGM_RSRC2:USER_SGPR: 6
; COMPUTE_PGM_RSRC2:TRAP_HANDLER: 0
; COMPUTE_PGM_RSRC2:TGID_X_EN: 1
; COMPUTE_PGM_RSRC2:TGID_Y_EN: 0
; COMPUTE_PGM_RSRC2:TGID_Z_EN: 0
; COMPUTE_PGM_RSRC2:TIDIG_COMP_CNT: 0
; COMPUTE_PGM_RSRC3_GFX90A:ACCUM_OFFSET: 3
; COMPUTE_PGM_RSRC3_GFX90A:TG_SPLIT: 0
	.section	.text._Z6kernelI27subtract_right_partial_tileLj256ELj8ELb0EJPaPiS1_jEEvDpT3_,"axG",@progbits,_Z6kernelI27subtract_right_partial_tileLj256ELj8ELb0EJPaPiS1_jEEvDpT3_,comdat
	.protected	_Z6kernelI27subtract_right_partial_tileLj256ELj8ELb0EJPaPiS1_jEEvDpT3_ ; -- Begin function _Z6kernelI27subtract_right_partial_tileLj256ELj8ELb0EJPaPiS1_jEEvDpT3_
	.globl	_Z6kernelI27subtract_right_partial_tileLj256ELj8ELb0EJPaPiS1_jEEvDpT3_
	.p2align	8
	.type	_Z6kernelI27subtract_right_partial_tileLj256ELj8ELb0EJPaPiS1_jEEvDpT3_,@function
_Z6kernelI27subtract_right_partial_tileLj256ELj8ELb0EJPaPiS1_jEEvDpT3_: ; @_Z6kernelI27subtract_right_partial_tileLj256ELj8ELb0EJPaPiS1_jEEvDpT3_
; %bb.0:
	s_load_dwordx4 s[0:3], s[4:5], 0x0
	s_load_dwordx2 s[8:9], s[4:5], 0x10
	s_lshl_b32 s10, s6, 11
	s_load_dword s4, s[4:5], 0x18
	s_mov_b32 s7, 0
	s_waitcnt lgkmcnt(0)
	s_add_u32 s0, s0, s10
	s_addc_u32 s1, s1, 0
	global_load_ubyte v9, v0, s[0:1] offset:256
	global_load_ubyte v10, v0, s[0:1] offset:768
	;; [unrolled: 1-line block ×4, first 2 shown]
	global_load_ubyte v13, v0, s[0:1]
	global_load_ubyte v14, v0, s[0:1] offset:512
	global_load_ubyte v15, v0, s[0:1] offset:1024
	;; [unrolled: 1-line block ×3, first 2 shown]
	v_cvt_f32_u32_e32 v17, s4
	s_lshl_b64 s[0:1], s[6:7], 2
	s_add_u32 s0, s2, s0
	s_addc_u32 s1, s3, s1
	v_rcp_iflag_f32_e32 v17, v17
	s_sub_i32 s3, 0, s4
	s_load_dword s2, s[0:1], 0x0
	v_lshlrev_b32_e32 v8, 3, v0
	v_mul_f32_e32 v17, 0x4f7ffffe, v17
	v_cvt_u32_f32_e32 v17, v17
	s_movk_i32 s11, 0xff00
	s_movk_i32 s12, 0xff
	s_mov_b32 s13, 0x3060504
	v_readfirstlane_b32 s0, v17
	s_mul_i32 s3, s3, s0
	s_mul_hi_u32 s1, s0, s3
	s_add_i32 s0, s0, s1
	s_lshr_b32 s0, s0, 21
	s_mul_i32 s1, s0, s4
	s_sub_i32 s1, 0x800, s1
	s_add_i32 s3, s0, 1
	s_sub_i32 s5, s1, s4
	s_cmp_ge_u32 s1, s4
	s_cselect_b32 s0, s3, s0
	s_cselect_b32 s1, s5, s1
	s_add_i32 s3, s0, 1
	s_cmp_ge_u32 s1, s4
	s_cselect_b32 s0, s3, s0
	s_mov_b32 s14, 0x3020104
	v_or_b32_e32 v1, 1, v8
	v_or_b32_e32 v2, 2, v8
	;; [unrolled: 1-line block ×7, first 2 shown]
	v_add_u32_e32 v8, 8, v8
	s_max_u32 s3, s4, 1
	s_add_i32 s4, s0, 1
                                        ; implicit-def: $vgpr17
	s_waitcnt vmcnt(7)
	v_lshlrev_b16_e32 v9, 8, v9
	s_waitcnt vmcnt(6)
	v_lshlrev_b16_e32 v10, 8, v10
	s_waitcnt vmcnt(5)
	v_lshlrev_b16_e32 v11, 8, v11
	s_waitcnt vmcnt(4)
	v_lshlrev_b16_e32 v12, 8, v12
	s_waitcnt vmcnt(3)
	v_or_b32_e32 v9, v13, v9
	s_waitcnt vmcnt(2)
	v_or_b32_sdwa v10, v14, v10 dst_sel:WORD_1 dst_unused:UNUSED_PAD src0_sel:DWORD src1_sel:DWORD
	s_waitcnt vmcnt(1)
	v_or_b32_e32 v11, v15, v11
	s_waitcnt vmcnt(0)
	v_or_b32_sdwa v12, v16, v12 dst_sel:WORD_1 dst_unused:UNUSED_PAD src0_sel:DWORD src1_sel:DWORD
	v_or_b32_sdwa v10, v9, v10 dst_sel:DWORD dst_unused:UNUSED_PAD src0_sel:WORD_0 src1_sel:DWORD
	v_or_b32_sdwa v11, v11, v12 dst_sel:DWORD dst_unused:UNUSED_PAD src0_sel:WORD_0 src1_sel:DWORD
	v_mov_b32_e32 v9, 8
                                        ; implicit-def: $vgpr16
                                        ; implicit-def: $vgpr15
	s_branch .LBB195_2
.LBB195_1:                              ;   in Loop: Header=BB195_2 Depth=1
	s_or_b64 exec, exec, s[0:1]
	v_add_u16_e32 v18, v16, v10
	v_lshrrev_b32_e32 v19, 8, v16
	v_add_u16_sdwa v12, v16, v12 dst_sel:DWORD dst_unused:UNUSED_PAD src0_sel:WORD_1 src1_sel:DWORD
	v_lshrrev_b32_e32 v16, 24, v16
	v_lshrrev_b32_e32 v15, 16, v17
	v_add_u16_e32 v14, v19, v14
	v_add_u16_sdwa v19, v16, v10 dst_sel:DWORD dst_unused:UNUSED_PAD src0_sel:DWORD src1_sel:BYTE_3
	v_add_u16_e32 v20, v17, v11
	v_lshrrev_b32_e32 v16, 8, v17
	v_lshrrev_b32_e32 v17, 24, v17
	v_add_u16_sdwa v21, v15, v11 dst_sel:DWORD dst_unused:UNUSED_PAD src0_sel:DWORD src1_sel:WORD_1
	v_add_u16_sdwa v22, v17, v11 dst_sel:DWORD dst_unused:UNUSED_PAD src0_sel:DWORD src1_sel:BYTE_3
	v_lshlrev_b16_e32 v10, 8, v14
	v_lshlrev_b16_e32 v11, 8, v19
	v_add_u16_e32 v13, v16, v13
	v_or_b32_sdwa v10, v18, v10 dst_sel:DWORD dst_unused:UNUSED_PAD src0_sel:BYTE_0 src1_sel:DWORD
	v_or_b32_sdwa v11, v12, v11 dst_sel:WORD_1 dst_unused:UNUSED_PAD src0_sel:BYTE_0 src1_sel:DWORD
	s_add_i32 s0, s4, s2
	v_or_b32_sdwa v10, v10, v11 dst_sel:DWORD dst_unused:UNUSED_PAD src0_sel:WORD_0 src1_sel:DWORD
	v_lshlrev_b16_e32 v11, 8, v13
	v_lshlrev_b16_e32 v23, 8, v22
	s_and_b32 s2, s0, 0x7ff
	v_or_b32_sdwa v11, v20, v11 dst_sel:DWORD dst_unused:UNUSED_PAD src0_sel:BYTE_0 src1_sel:DWORD
	v_or_b32_sdwa v23, v21, v23 dst_sel:WORD_1 dst_unused:UNUSED_PAD src0_sel:BYTE_0 src1_sel:DWORD
	s_add_i32 s3, s3, -1
	s_cmp_lg_u32 s3, 0
	v_or_b32_sdwa v11, v11, v23 dst_sel:DWORD dst_unused:UNUSED_PAD src0_sel:WORD_0 src1_sel:DWORD
	s_barrier
	s_cbranch_scc0 .LBB195_4
.LBB195_2:                              ; =>This Inner Loop Header: Depth=1
	v_lshrrev_b32_e32 v12, 16, v10
	v_sub_u16_sdwa v14, v12, v10 dst_sel:DWORD dst_unused:UNUSED_PAD src0_sel:DWORD src1_sel:BYTE_3
	s_waitcnt lgkmcnt(0)
	v_cmp_gt_u32_e32 vcc, s2, v3
	v_cndmask_b32_e32 v18, v12, v14, vcc
	v_lshrrev_b32_e32 v14, 8, v10
	v_and_b32_e32 v13, 0xffffff00, v12
	v_sub_u16_e32 v20, v10, v14
	v_cmp_gt_u32_e32 vcc, s2, v1
	v_or_b32_sdwa v19, v18, v13 dst_sel:DWORD dst_unused:UNUSED_PAD src0_sel:BYTE_0 src1_sel:DWORD
	v_and_b32_e32 v13, 0xffffff00, v10
	v_cndmask_b32_e32 v20, v10, v20, vcc
	v_or_b32_sdwa v21, v20, v13 dst_sel:DWORD dst_unused:UNUSED_PAD src0_sel:BYTE_0 src1_sel:DWORD
	v_lshlrev_b16_e32 v17, 8, v17
	v_or_b32_sdwa v15, v15, v17 dst_sel:WORD_1 dst_unused:UNUSED_PAD src0_sel:BYTE_0 src1_sel:DWORD
	v_lshlrev_b16_e32 v17, 8, v16
	v_and_b32_e32 v16, 0xffff, v21
	v_sub_u16_sdwa v21, v14, v12 dst_sel:BYTE_1 dst_unused:UNUSED_PAD src0_sel:DWORD src1_sel:DWORD
	v_or_b32_sdwa v20, v20, v21 dst_sel:DWORD dst_unused:UNUSED_PAD src0_sel:BYTE_0 src1_sel:DWORD
	v_and_b32_e32 v20, 0xffff, v20
	v_cmp_gt_u32_e32 vcc, s2, v2
	v_cndmask_b32_e32 v16, v16, v20, vcc
	v_sub_u16_sdwa v20, v10, v11 dst_sel:BYTE_1 dst_unused:UNUSED_PAD src0_sel:BYTE_3 src1_sel:DWORD
	v_or_b32_sdwa v18, v18, v20 dst_sel:DWORD dst_unused:UNUSED_PAD src0_sel:BYTE_0 src1_sel:DWORD
	v_cmp_gt_u32_e32 vcc, s2, v4
	v_lshrrev_b32_e32 v13, 8, v11
	v_cndmask_b32_e32 v18, v19, v18, vcc
	v_lshl_or_b32 v16, v18, 16, v16
	v_sub_u16_e32 v18, v11, v13
	v_or_b32_sdwa v18, v18, v17 dst_sel:DWORD dst_unused:UNUSED_PAD src0_sel:BYTE_0 src1_sel:DWORD
	v_or_b32_sdwa v17, v11, v17 dst_sel:DWORD dst_unused:UNUSED_PAD src0_sel:BYTE_0 src1_sel:DWORD
	v_or_b32_sdwa v18, v18, v15 dst_sel:DWORD dst_unused:UNUSED_PAD src0_sel:WORD_0 src1_sel:DWORD
	v_or_b32_sdwa v15, v17, v15 dst_sel:DWORD dst_unused:UNUSED_PAD src0_sel:WORD_0 src1_sel:DWORD
	v_cmp_gt_u32_e32 vcc, s2, v5
	v_and_b32_e32 v22, 0xffffff00, v11
	v_cndmask_b32_e32 v15, v15, v18, vcc
	v_sub_u16_sdwa v20, v13, v11 dst_sel:BYTE_1 dst_unused:UNUSED_PAD src0_sel:DWORD src1_sel:WORD_1
	v_or_b32_sdwa v17, v15, v22 dst_sel:DWORD dst_unused:UNUSED_PAD src0_sel:BYTE_0 src1_sel:DWORD
	v_and_b32_e32 v19, 0xffff0000, v15
	v_or_b32_sdwa v15, v15, v20 dst_sel:DWORD dst_unused:UNUSED_PAD src0_sel:BYTE_0 src1_sel:DWORD
	v_or_b32_sdwa v15, v15, v19 dst_sel:DWORD dst_unused:UNUSED_PAD src0_sel:WORD_0 src1_sel:DWORD
	v_or_b32_sdwa v17, v17, v19 dst_sel:DWORD dst_unused:UNUSED_PAD src0_sel:WORD_0 src1_sel:DWORD
	v_cmp_gt_u32_e32 vcc, s2, v6
	v_cndmask_b32_e32 v15, v17, v15, vcc
	v_and_b32_sdwa v18, v11, s12 dst_sel:DWORD dst_unused:UNUSED_PAD src0_sel:WORD_1 src1_sel:DWORD
	v_and_b32_sdwa v17, v15, s11 dst_sel:DWORD dst_unused:UNUSED_PAD src0_sel:WORD_1 src1_sel:DWORD
	v_sub_u16_sdwa v19, v11, v11 dst_sel:DWORD dst_unused:UNUSED_PAD src0_sel:WORD_1 src1_sel:BYTE_3
	v_or_b32_sdwa v19, v19, v17 dst_sel:WORD_1 dst_unused:UNUSED_PAD src0_sel:BYTE_0 src1_sel:DWORD
	v_or_b32_sdwa v17, v18, v17 dst_sel:WORD_1 dst_unused:UNUSED_PAD src0_sel:DWORD src1_sel:DWORD
	v_or_b32_sdwa v17, v15, v17 dst_sel:DWORD dst_unused:UNUSED_PAD src0_sel:WORD_0 src1_sel:DWORD
	v_or_b32_sdwa v15, v15, v19 dst_sel:DWORD dst_unused:UNUSED_PAD src0_sel:WORD_0 src1_sel:DWORD
	v_cmp_gt_u32_e32 vcc, s2, v7
	v_cndmask_b32_e32 v15, v17, v15, vcc
	v_perm_b32 v17, v15, v11, s13
	v_cmp_gt_u32_e32 vcc, s2, v8
	ds_write_b8 v0, v10 offset:256
	s_waitcnt lgkmcnt(0)
	s_barrier
	s_and_saveexec_b64 s[0:1], vcc
	s_cbranch_execz .LBB195_1
; %bb.3:                                ;   in Loop: Header=BB195_2 Depth=1
	ds_read_u8 v15, v0 offset:257
	v_lshrrev_b32_sdwa v18, v9, v17 dst_sel:BYTE_1 dst_unused:UNUSED_PAD src0_sel:DWORD src1_sel:DWORD
	v_or_b32_sdwa v18, v17, v18 dst_sel:DWORD dst_unused:UNUSED_PAD src0_sel:BYTE_0 src1_sel:DWORD
	v_and_b32_sdwa v17, v17, s12 dst_sel:DWORD dst_unused:UNUSED_PAD src0_sel:WORD_1 src1_sel:DWORD
	v_perm_b32 v16, v16, v16, s14
	s_waitcnt lgkmcnt(0)
	v_sub_u16_sdwa v15, v11, v15 dst_sel:DWORD dst_unused:UNUSED_PAD src0_sel:BYTE_3 src1_sel:DWORD
	v_lshlrev_b16_e32 v15, 8, v15
	v_or_b32_sdwa v15, v17, v15 dst_sel:WORD_1 dst_unused:UNUSED_PAD src0_sel:DWORD src1_sel:DWORD
	v_or_b32_sdwa v17, v18, v15 dst_sel:DWORD dst_unused:UNUSED_PAD src0_sel:WORD_0 src1_sel:DWORD
	s_branch .LBB195_1
.LBB195_4:
	s_add_u32 s0, s8, s10
	s_addc_u32 s1, s9, 0
	v_mov_b32_e32 v1, s1
	v_add_co_u32_e32 v0, vcc, s0, v0
	v_addc_co_u32_e32 v1, vcc, 0, v1, vcc
	global_store_byte v[0:1], v18, off
	global_store_byte v[0:1], v14, off offset:256
	global_store_byte v[0:1], v12, off offset:512
	;; [unrolled: 1-line block ×7, first 2 shown]
	s_endpgm
	.section	.rodata,"a",@progbits
	.p2align	6, 0x0
	.amdhsa_kernel _Z6kernelI27subtract_right_partial_tileLj256ELj8ELb0EJPaPiS1_jEEvDpT3_
		.amdhsa_group_segment_fixed_size 512
		.amdhsa_private_segment_fixed_size 0
		.amdhsa_kernarg_size 28
		.amdhsa_user_sgpr_count 6
		.amdhsa_user_sgpr_private_segment_buffer 1
		.amdhsa_user_sgpr_dispatch_ptr 0
		.amdhsa_user_sgpr_queue_ptr 0
		.amdhsa_user_sgpr_kernarg_segment_ptr 1
		.amdhsa_user_sgpr_dispatch_id 0
		.amdhsa_user_sgpr_flat_scratch_init 0
		.amdhsa_user_sgpr_kernarg_preload_length 0
		.amdhsa_user_sgpr_kernarg_preload_offset 0
		.amdhsa_user_sgpr_private_segment_size 0
		.amdhsa_uses_dynamic_stack 0
		.amdhsa_system_sgpr_private_segment_wavefront_offset 0
		.amdhsa_system_sgpr_workgroup_id_x 1
		.amdhsa_system_sgpr_workgroup_id_y 0
		.amdhsa_system_sgpr_workgroup_id_z 0
		.amdhsa_system_sgpr_workgroup_info 0
		.amdhsa_system_vgpr_workitem_id 0
		.amdhsa_next_free_vgpr 24
		.amdhsa_next_free_sgpr 15
		.amdhsa_accum_offset 24
		.amdhsa_reserve_vcc 1
		.amdhsa_reserve_flat_scratch 0
		.amdhsa_float_round_mode_32 0
		.amdhsa_float_round_mode_16_64 0
		.amdhsa_float_denorm_mode_32 3
		.amdhsa_float_denorm_mode_16_64 3
		.amdhsa_dx10_clamp 1
		.amdhsa_ieee_mode 1
		.amdhsa_fp16_overflow 0
		.amdhsa_tg_split 0
		.amdhsa_exception_fp_ieee_invalid_op 0
		.amdhsa_exception_fp_denorm_src 0
		.amdhsa_exception_fp_ieee_div_zero 0
		.amdhsa_exception_fp_ieee_overflow 0
		.amdhsa_exception_fp_ieee_underflow 0
		.amdhsa_exception_fp_ieee_inexact 0
		.amdhsa_exception_int_div_zero 0
	.end_amdhsa_kernel
	.section	.text._Z6kernelI27subtract_right_partial_tileLj256ELj8ELb0EJPaPiS1_jEEvDpT3_,"axG",@progbits,_Z6kernelI27subtract_right_partial_tileLj256ELj8ELb0EJPaPiS1_jEEvDpT3_,comdat
.Lfunc_end195:
	.size	_Z6kernelI27subtract_right_partial_tileLj256ELj8ELb0EJPaPiS1_jEEvDpT3_, .Lfunc_end195-_Z6kernelI27subtract_right_partial_tileLj256ELj8ELb0EJPaPiS1_jEEvDpT3_
                                        ; -- End function
	.section	.AMDGPU.csdata,"",@progbits
; Kernel info:
; codeLenInByte = 1080
; NumSgprs: 19
; NumVgprs: 24
; NumAgprs: 0
; TotalNumVgprs: 24
; ScratchSize: 0
; MemoryBound: 0
; FloatMode: 240
; IeeeMode: 1
; LDSByteSize: 512 bytes/workgroup (compile time only)
; SGPRBlocks: 2
; VGPRBlocks: 2
; NumSGPRsForWavesPerEU: 19
; NumVGPRsForWavesPerEU: 24
; AccumOffset: 24
; Occupancy: 8
; WaveLimiterHint : 1
; COMPUTE_PGM_RSRC2:SCRATCH_EN: 0
; COMPUTE_PGM_RSRC2:USER_SGPR: 6
; COMPUTE_PGM_RSRC2:TRAP_HANDLER: 0
; COMPUTE_PGM_RSRC2:TGID_X_EN: 1
; COMPUTE_PGM_RSRC2:TGID_Y_EN: 0
; COMPUTE_PGM_RSRC2:TGID_Z_EN: 0
; COMPUTE_PGM_RSRC2:TIDIG_COMP_CNT: 0
; COMPUTE_PGM_RSRC3_GFX90A:ACCUM_OFFSET: 5
; COMPUTE_PGM_RSRC3_GFX90A:TG_SPLIT: 0
	.section	.text._Z6kernelI27subtract_right_partial_tileLj256ELj16ELb0EJPaPiS1_jEEvDpT3_,"axG",@progbits,_Z6kernelI27subtract_right_partial_tileLj256ELj16ELb0EJPaPiS1_jEEvDpT3_,comdat
	.protected	_Z6kernelI27subtract_right_partial_tileLj256ELj16ELb0EJPaPiS1_jEEvDpT3_ ; -- Begin function _Z6kernelI27subtract_right_partial_tileLj256ELj16ELb0EJPaPiS1_jEEvDpT3_
	.globl	_Z6kernelI27subtract_right_partial_tileLj256ELj16ELb0EJPaPiS1_jEEvDpT3_
	.p2align	8
	.type	_Z6kernelI27subtract_right_partial_tileLj256ELj16ELb0EJPaPiS1_jEEvDpT3_,@function
_Z6kernelI27subtract_right_partial_tileLj256ELj16ELb0EJPaPiS1_jEEvDpT3_: ; @_Z6kernelI27subtract_right_partial_tileLj256ELj16ELb0EJPaPiS1_jEEvDpT3_
; %bb.0:
	s_load_dwordx4 s[0:3], s[4:5], 0x0
	s_load_dwordx2 s[8:9], s[4:5], 0x10
	s_lshl_b32 s10, s6, 12
	s_load_dword s4, s[4:5], 0x18
	s_mov_b32 s7, 0
	s_waitcnt lgkmcnt(0)
	s_add_u32 s0, s0, s10
	s_addc_u32 s1, s1, 0
	global_load_ubyte v17, v0, s[0:1] offset:256
	global_load_ubyte v18, v0, s[0:1] offset:768
	global_load_ubyte v19, v0, s[0:1] offset:1280
	global_load_ubyte v20, v0, s[0:1] offset:1792
	global_load_ubyte v21, v0, s[0:1] offset:2304
	global_load_ubyte v22, v0, s[0:1] offset:2816
	global_load_ubyte v23, v0, s[0:1] offset:3328
	global_load_ubyte v24, v0, s[0:1] offset:3840
	global_load_ubyte v25, v0, s[0:1]
	global_load_ubyte v26, v0, s[0:1] offset:512
	global_load_ubyte v27, v0, s[0:1] offset:1024
	;; [unrolled: 1-line block ×7, first 2 shown]
	v_cvt_f32_u32_e32 v33, s4
	s_lshl_b64 s[0:1], s[6:7], 2
	s_add_u32 s0, s2, s0
	s_addc_u32 s1, s3, s1
	v_rcp_iflag_f32_e32 v33, v33
	s_sub_i32 s3, 0, s4
	s_load_dword s2, s[0:1], 0x0
	v_lshlrev_b32_e32 v16, 4, v0
	v_mul_f32_e32 v33, 0x4f7ffffe, v33
	v_cvt_u32_f32_e32 v33, v33
	s_movk_i32 s11, 0xff00
	s_movk_i32 s12, 0xff
	v_or_b32_e32 v1, 1, v16
	v_readfirstlane_b32 s0, v33
	s_mul_i32 s3, s3, s0
	s_mul_hi_u32 s1, s0, s3
	s_add_i32 s0, s0, s1
	s_lshr_b32 s0, s0, 20
	s_mul_i32 s1, s0, s4
	s_sub_i32 s1, 0x1000, s1
	s_add_i32 s3, s0, 1
	s_sub_i32 s5, s1, s4
	s_cmp_ge_u32 s1, s4
	s_cselect_b32 s0, s3, s0
	s_cselect_b32 s1, s5, s1
	s_add_i32 s3, s0, 1
	s_cmp_ge_u32 s1, s4
	s_cselect_b32 s0, s3, s0
	v_or_b32_e32 v2, 2, v16
	v_or_b32_e32 v3, 3, v16
	;; [unrolled: 1-line block ×14, first 2 shown]
	v_add_u32_e32 v16, 16, v16
	s_max_u32 s3, s4, 1
	s_add_i32 s4, s0, 1
	s_mov_b32 s5, 0x3060504
	s_mov_b32 s6, 0x3020104
                                        ; implicit-def: $vgpr33
	s_waitcnt vmcnt(15)
	v_lshlrev_b16_e32 v17, 8, v17
	s_waitcnt vmcnt(14)
	v_lshlrev_b16_e32 v18, 8, v18
	;; [unrolled: 2-line block ×8, first 2 shown]
	s_waitcnt vmcnt(7)
	v_or_b32_e32 v17, v25, v17
	s_waitcnt vmcnt(6)
	v_or_b32_sdwa v18, v26, v18 dst_sel:WORD_1 dst_unused:UNUSED_PAD src0_sel:DWORD src1_sel:DWORD
	s_waitcnt vmcnt(5)
	v_or_b32_e32 v19, v27, v19
	s_waitcnt vmcnt(4)
	v_or_b32_sdwa v20, v28, v20 dst_sel:WORD_1 dst_unused:UNUSED_PAD src0_sel:DWORD src1_sel:DWORD
	;; [unrolled: 4-line block ×4, first 2 shown]
	v_or_b32_sdwa v21, v17, v18 dst_sel:DWORD dst_unused:UNUSED_PAD src0_sel:WORD_0 src1_sel:DWORD
	v_or_b32_sdwa v18, v19, v20 dst_sel:DWORD dst_unused:UNUSED_PAD src0_sel:WORD_0 src1_sel:DWORD
	;; [unrolled: 1-line block ×4, first 2 shown]
	v_mov_b32_e32 v17, 8
                                        ; implicit-def: $vgpr32
                                        ; implicit-def: $vgpr29
                                        ; implicit-def: $vgpr26
                                        ; implicit-def: $vgpr25
                                        ; implicit-def: $vgpr27
	s_branch .LBB196_2
.LBB196_1:                              ;   in Loop: Header=BB196_2 Depth=1
	s_or_b64 exec, exec, s[0:1]
	v_lshrrev_b32_e32 v33, 8, v32
	v_lshrrev_b32_e32 v29, 16, v26
	v_add_u16_e32 v24, v33, v24
	v_lshrrev_b32_e32 v33, 24, v26
	v_add_u16_e32 v34, v32, v21
	v_add_u16_sdwa v22, v32, v22 dst_sel:DWORD dst_unused:UNUSED_PAD src0_sel:WORD_1 src1_sel:DWORD
	v_lshrrev_b32_e32 v32, 24, v32
	v_add_u16_e32 v36, v26, v18
	v_add_u16_sdwa v37, v29, v18 dst_sel:DWORD dst_unused:UNUSED_PAD src0_sel:DWORD src1_sel:WORD_1
	v_add_u16_sdwa v38, v33, v18 dst_sel:DWORD dst_unused:UNUSED_PAD src0_sel:DWORD src1_sel:BYTE_3
	v_lshrrev_b32_e32 v18, 8, v40
	v_add_u16_sdwa v35, v32, v21 dst_sel:DWORD dst_unused:UNUSED_PAD src0_sel:DWORD src1_sel:BYTE_3
	v_add_u16_e32 v31, v18, v31
	v_lshrrev_b32_e32 v18, 24, v40
	v_lshrrev_b32_e32 v32, 8, v26
	v_add_u16_e32 v39, v40, v19
	v_add_u16_sdwa v28, v40, v28 dst_sel:DWORD dst_unused:UNUSED_PAD src0_sel:WORD_1 src1_sel:DWORD
	v_add_u16_sdwa v40, v18, v19 dst_sel:DWORD dst_unused:UNUSED_PAD src0_sel:DWORD src1_sel:BYTE_3
	v_lshlrev_b16_e32 v18, 8, v24
	v_lshlrev_b16_e32 v19, 8, v35
	v_add_u16_e32 v23, v32, v23
	v_or_b32_sdwa v18, v34, v18 dst_sel:DWORD dst_unused:UNUSED_PAD src0_sel:BYTE_0 src1_sel:DWORD
	v_or_b32_sdwa v19, v22, v19 dst_sel:WORD_1 dst_unused:UNUSED_PAD src0_sel:BYTE_0 src1_sel:DWORD
	v_or_b32_sdwa v21, v18, v19 dst_sel:DWORD dst_unused:UNUSED_PAD src0_sel:WORD_0 src1_sel:DWORD
	v_lshlrev_b16_e32 v18, 8, v23
	v_lshlrev_b16_e32 v19, 8, v38
	v_lshrrev_b32_e32 v25, 16, v27
	v_add_u16_e32 v41, v27, v20
	v_lshrrev_b32_e32 v26, 8, v27
	v_lshrrev_b32_e32 v27, 24, v27
	v_or_b32_sdwa v18, v36, v18 dst_sel:DWORD dst_unused:UNUSED_PAD src0_sel:BYTE_0 src1_sel:DWORD
	v_or_b32_sdwa v19, v37, v19 dst_sel:WORD_1 dst_unused:UNUSED_PAD src0_sel:BYTE_0 src1_sel:DWORD
	v_add_u16_sdwa v42, v25, v20 dst_sel:DWORD dst_unused:UNUSED_PAD src0_sel:DWORD src1_sel:WORD_1
	v_add_u16_sdwa v43, v27, v20 dst_sel:DWORD dst_unused:UNUSED_PAD src0_sel:DWORD src1_sel:BYTE_3
	v_or_b32_sdwa v18, v18, v19 dst_sel:DWORD dst_unused:UNUSED_PAD src0_sel:WORD_0 src1_sel:DWORD
	v_lshlrev_b16_e32 v19, 8, v31
	v_lshlrev_b16_e32 v20, 8, v40
	v_add_u16_e32 v30, v26, v30
	v_or_b32_sdwa v19, v39, v19 dst_sel:DWORD dst_unused:UNUSED_PAD src0_sel:BYTE_0 src1_sel:DWORD
	v_or_b32_sdwa v20, v28, v20 dst_sel:WORD_1 dst_unused:UNUSED_PAD src0_sel:BYTE_0 src1_sel:DWORD
	s_add_i32 s0, s4, s2
	v_or_b32_sdwa v19, v19, v20 dst_sel:DWORD dst_unused:UNUSED_PAD src0_sel:WORD_0 src1_sel:DWORD
	v_lshlrev_b16_e32 v20, 8, v30
	v_lshlrev_b16_e32 v44, 8, v43
	s_and_b32 s2, s0, 0xfff
	v_or_b32_sdwa v20, v41, v20 dst_sel:DWORD dst_unused:UNUSED_PAD src0_sel:BYTE_0 src1_sel:DWORD
	v_or_b32_sdwa v44, v42, v44 dst_sel:WORD_1 dst_unused:UNUSED_PAD src0_sel:BYTE_0 src1_sel:DWORD
	s_add_i32 s3, s3, -1
	s_cmp_lg_u32 s3, 0
	v_or_b32_sdwa v20, v20, v44 dst_sel:DWORD dst_unused:UNUSED_PAD src0_sel:WORD_0 src1_sel:DWORD
	s_barrier
	s_cbranch_scc0 .LBB196_4
.LBB196_2:                              ; =>This Inner Loop Header: Depth=1
	v_lshrrev_b32_e32 v22, 16, v21
	v_sub_u16_sdwa v24, v22, v21 dst_sel:DWORD dst_unused:UNUSED_PAD src0_sel:DWORD src1_sel:BYTE_3
	s_waitcnt lgkmcnt(0)
	v_cmp_gt_u32_e32 vcc, s2, v3
	v_cndmask_b32_e32 v28, v22, v24, vcc
	v_lshrrev_b32_e32 v24, 8, v21
	v_and_b32_e32 v23, 0xffffff00, v22
	v_sub_u16_e32 v31, v21, v24
	v_cmp_gt_u32_e32 vcc, s2, v1
	v_or_b32_sdwa v30, v28, v23 dst_sel:DWORD dst_unused:UNUSED_PAD src0_sel:BYTE_0 src1_sel:DWORD
	v_and_b32_e32 v23, 0xffffff00, v21
	v_cndmask_b32_e32 v31, v21, v31, vcc
	v_or_b32_sdwa v34, v31, v23 dst_sel:DWORD dst_unused:UNUSED_PAD src0_sel:BYTE_0 src1_sel:DWORD
	v_lshlrev_b16_e32 v33, 8, v33
	v_or_b32_sdwa v33, v29, v33 dst_sel:WORD_1 dst_unused:UNUSED_PAD src0_sel:BYTE_0 src1_sel:DWORD
	v_and_b32_e32 v29, 0xffff, v34
	v_sub_u16_sdwa v34, v24, v22 dst_sel:BYTE_1 dst_unused:UNUSED_PAD src0_sel:DWORD src1_sel:DWORD
	v_or_b32_sdwa v31, v31, v34 dst_sel:DWORD dst_unused:UNUSED_PAD src0_sel:BYTE_0 src1_sel:DWORD
	v_and_b32_e32 v31, 0xffff, v31
	v_cmp_gt_u32_e32 vcc, s2, v2
	v_cndmask_b32_e32 v29, v29, v31, vcc
	v_sub_u16_sdwa v31, v21, v18 dst_sel:BYTE_1 dst_unused:UNUSED_PAD src0_sel:BYTE_3 src1_sel:DWORD
	v_or_b32_sdwa v28, v28, v31 dst_sel:DWORD dst_unused:UNUSED_PAD src0_sel:BYTE_0 src1_sel:DWORD
	v_cmp_gt_u32_e32 vcc, s2, v4
	v_lshrrev_b32_e32 v23, 8, v18
	v_cndmask_b32_e32 v28, v30, v28, vcc
	v_lshlrev_b16_e32 v32, 8, v32
	v_lshl_or_b32 v29, v28, 16, v29
	v_sub_u16_e32 v28, v18, v23
	v_or_b32_sdwa v28, v28, v32 dst_sel:DWORD dst_unused:UNUSED_PAD src0_sel:BYTE_0 src1_sel:DWORD
	v_or_b32_sdwa v30, v18, v32 dst_sel:DWORD dst_unused:UNUSED_PAD src0_sel:BYTE_0 src1_sel:DWORD
	v_or_b32_sdwa v28, v28, v33 dst_sel:DWORD dst_unused:UNUSED_PAD src0_sel:WORD_0 src1_sel:DWORD
	v_or_b32_sdwa v30, v30, v33 dst_sel:DWORD dst_unused:UNUSED_PAD src0_sel:WORD_0 src1_sel:DWORD
	v_cmp_gt_u32_e32 vcc, s2, v5
	v_and_b32_e32 v35, 0xffffff00, v18
	v_cndmask_b32_e32 v28, v30, v28, vcc
	v_sub_u16_sdwa v34, v23, v18 dst_sel:BYTE_1 dst_unused:UNUSED_PAD src0_sel:DWORD src1_sel:WORD_1
	v_or_b32_sdwa v30, v28, v35 dst_sel:DWORD dst_unused:UNUSED_PAD src0_sel:BYTE_0 src1_sel:DWORD
	v_and_b32_e32 v33, 0xffff0000, v28
	v_or_b32_sdwa v28, v28, v34 dst_sel:DWORD dst_unused:UNUSED_PAD src0_sel:BYTE_0 src1_sel:DWORD
	v_or_b32_sdwa v28, v28, v33 dst_sel:DWORD dst_unused:UNUSED_PAD src0_sel:WORD_0 src1_sel:DWORD
	v_or_b32_sdwa v30, v30, v33 dst_sel:DWORD dst_unused:UNUSED_PAD src0_sel:WORD_0 src1_sel:DWORD
	v_cmp_gt_u32_e32 vcc, s2, v6
	v_cndmask_b32_e32 v28, v30, v28, vcc
	v_and_b32_sdwa v32, v18, s12 dst_sel:DWORD dst_unused:UNUSED_PAD src0_sel:WORD_1 src1_sel:DWORD
	v_and_b32_sdwa v30, v28, s11 dst_sel:DWORD dst_unused:UNUSED_PAD src0_sel:WORD_1 src1_sel:DWORD
	v_sub_u16_sdwa v33, v18, v18 dst_sel:DWORD dst_unused:UNUSED_PAD src0_sel:WORD_1 src1_sel:BYTE_3
	v_or_b32_sdwa v33, v33, v30 dst_sel:WORD_1 dst_unused:UNUSED_PAD src0_sel:BYTE_0 src1_sel:DWORD
	v_or_b32_sdwa v30, v32, v30 dst_sel:WORD_1 dst_unused:UNUSED_PAD src0_sel:DWORD src1_sel:DWORD
	v_or_b32_sdwa v30, v28, v30 dst_sel:DWORD dst_unused:UNUSED_PAD src0_sel:WORD_0 src1_sel:DWORD
	v_or_b32_sdwa v28, v28, v33 dst_sel:DWORD dst_unused:UNUSED_PAD src0_sel:WORD_0 src1_sel:DWORD
	v_cmp_gt_u32_e32 vcc, s2, v7
	v_cndmask_b32_e32 v32, v30, v28, vcc
	v_and_b32_sdwa v31, v18, s11 dst_sel:DWORD dst_unused:UNUSED_PAD src0_sel:WORD_1 src1_sel:DWORD
	v_and_b32_sdwa v33, v32, s12 dst_sel:DWORD dst_unused:UNUSED_PAD src0_sel:WORD_1 src1_sel:DWORD
	v_lshrrev_b32_e32 v28, 16, v19
	v_or_b32_sdwa v34, v33, v31 dst_sel:WORD_1 dst_unused:UNUSED_PAD src0_sel:DWORD src1_sel:DWORD
	v_sub_u16_sdwa v31, v28, v19 dst_sel:DWORD dst_unused:UNUSED_PAD src0_sel:DWORD src1_sel:BYTE_3
	v_cmp_gt_u32_e32 vcc, s2, v11
	v_cndmask_b32_e32 v35, v28, v31, vcc
	v_lshrrev_b32_e32 v31, 8, v19
	v_and_b32_e32 v30, 0xffffff00, v28
	v_sub_u16_e32 v37, v19, v31
	v_cmp_gt_u32_e32 vcc, s2, v9
	v_or_b32_sdwa v36, v35, v30 dst_sel:DWORD dst_unused:UNUSED_PAD src0_sel:BYTE_0 src1_sel:DWORD
	v_and_b32_e32 v30, 0xffffff00, v19
	v_cndmask_b32_e32 v37, v19, v37, vcc
	v_or_b32_sdwa v38, v37, v30 dst_sel:DWORD dst_unused:UNUSED_PAD src0_sel:BYTE_0 src1_sel:DWORD
	v_lshlrev_b16_e32 v27, 8, v27
	v_or_b32_sdwa v27, v25, v27 dst_sel:WORD_1 dst_unused:UNUSED_PAD src0_sel:BYTE_0 src1_sel:DWORD
	v_and_b32_e32 v25, 0xffff, v38
	v_sub_u16_sdwa v38, v31, v28 dst_sel:BYTE_1 dst_unused:UNUSED_PAD src0_sel:DWORD src1_sel:DWORD
	v_or_b32_sdwa v37, v37, v38 dst_sel:DWORD dst_unused:UNUSED_PAD src0_sel:BYTE_0 src1_sel:DWORD
	v_and_b32_e32 v37, 0xffff, v37
	v_cmp_gt_u32_e32 vcc, s2, v10
	v_cndmask_b32_e32 v25, v25, v37, vcc
	v_sub_u16_sdwa v37, v19, v20 dst_sel:BYTE_1 dst_unused:UNUSED_PAD src0_sel:BYTE_3 src1_sel:DWORD
	v_or_b32_sdwa v35, v35, v37 dst_sel:DWORD dst_unused:UNUSED_PAD src0_sel:BYTE_0 src1_sel:DWORD
	v_cmp_gt_u32_e32 vcc, s2, v12
	v_lshrrev_b32_e32 v30, 8, v20
	v_cndmask_b32_e32 v35, v36, v35, vcc
	v_lshlrev_b16_e32 v26, 8, v26
	v_lshl_or_b32 v25, v35, 16, v25
	v_sub_u16_e32 v35, v20, v30
	v_or_b32_sdwa v35, v35, v26 dst_sel:DWORD dst_unused:UNUSED_PAD src0_sel:BYTE_0 src1_sel:DWORD
	v_or_b32_sdwa v26, v20, v26 dst_sel:DWORD dst_unused:UNUSED_PAD src0_sel:BYTE_0 src1_sel:DWORD
	v_or_b32_sdwa v35, v35, v27 dst_sel:DWORD dst_unused:UNUSED_PAD src0_sel:WORD_0 src1_sel:DWORD
	v_or_b32_sdwa v26, v26, v27 dst_sel:DWORD dst_unused:UNUSED_PAD src0_sel:WORD_0 src1_sel:DWORD
	v_cmp_gt_u32_e32 vcc, s2, v13
	v_cndmask_b32_e32 v27, v26, v35, vcc
	v_or_b32_sdwa v26, v32, v34 dst_sel:DWORD dst_unused:UNUSED_PAD src0_sel:WORD_0 src1_sel:DWORD
	v_sub_u16_sdwa v34, v18, v19 dst_sel:BYTE_1 dst_unused:UNUSED_PAD src0_sel:BYTE_3 src1_sel:DWORD
	v_or_b32_sdwa v33, v33, v34 dst_sel:WORD_1 dst_unused:UNUSED_PAD src0_sel:DWORD src1_sel:DWORD
	v_and_b32_e32 v39, 0xffffff00, v20
	v_or_b32_sdwa v32, v32, v33 dst_sel:DWORD dst_unused:UNUSED_PAD src0_sel:WORD_0 src1_sel:DWORD
	v_cmp_gt_u32_e32 vcc, s2, v8
	v_sub_u16_sdwa v33, v30, v20 dst_sel:BYTE_1 dst_unused:UNUSED_PAD src0_sel:DWORD src1_sel:WORD_1
	v_or_b32_sdwa v35, v27, v39 dst_sel:DWORD dst_unused:UNUSED_PAD src0_sel:BYTE_0 src1_sel:DWORD
	v_cndmask_b32_e32 v26, v26, v32, vcc
	v_and_b32_e32 v32, 0xffff0000, v27
	v_or_b32_sdwa v27, v27, v33 dst_sel:DWORD dst_unused:UNUSED_PAD src0_sel:BYTE_0 src1_sel:DWORD
	v_or_b32_sdwa v27, v27, v32 dst_sel:DWORD dst_unused:UNUSED_PAD src0_sel:WORD_0 src1_sel:DWORD
	v_or_b32_sdwa v32, v35, v32 dst_sel:DWORD dst_unused:UNUSED_PAD src0_sel:WORD_0 src1_sel:DWORD
	v_cmp_gt_u32_e32 vcc, s2, v14
	v_cndmask_b32_e32 v27, v32, v27, vcc
	v_and_b32_sdwa v36, v20, s12 dst_sel:DWORD dst_unused:UNUSED_PAD src0_sel:WORD_1 src1_sel:DWORD
	v_and_b32_sdwa v32, v27, s11 dst_sel:DWORD dst_unused:UNUSED_PAD src0_sel:WORD_1 src1_sel:DWORD
	v_sub_u16_sdwa v33, v20, v20 dst_sel:DWORD dst_unused:UNUSED_PAD src0_sel:WORD_1 src1_sel:BYTE_3
	v_or_b32_sdwa v33, v33, v32 dst_sel:WORD_1 dst_unused:UNUSED_PAD src0_sel:BYTE_0 src1_sel:DWORD
	v_or_b32_sdwa v32, v36, v32 dst_sel:WORD_1 dst_unused:UNUSED_PAD src0_sel:DWORD src1_sel:DWORD
	v_or_b32_sdwa v32, v27, v32 dst_sel:DWORD dst_unused:UNUSED_PAD src0_sel:WORD_0 src1_sel:DWORD
	v_or_b32_sdwa v27, v27, v33 dst_sel:DWORD dst_unused:UNUSED_PAD src0_sel:WORD_0 src1_sel:DWORD
	v_cmp_gt_u32_e32 vcc, s2, v15
	v_cndmask_b32_e32 v27, v32, v27, vcc
	v_perm_b32 v27, v27, v20, s5
	v_cmp_gt_u32_e32 vcc, s2, v16
	v_perm_b32 v32, v29, v29, s6
	v_perm_b32 v40, v25, v25, s6
	ds_write_b8 v0, v21 offset:256
	s_waitcnt lgkmcnt(0)
	s_barrier
	s_and_saveexec_b64 s[0:1], vcc
	s_cbranch_execz .LBB196_1
; %bb.3:                                ;   in Loop: Header=BB196_2 Depth=1
	ds_read_u8 v33, v0 offset:257
	v_mov_b32_e32 v32, v29
	v_lshrrev_b32_sdwa v34, v17, v27 dst_sel:BYTE_1 dst_unused:UNUSED_PAD src0_sel:DWORD src1_sel:DWORD
	v_and_b32_sdwa v35, v27, s12 dst_sel:DWORD dst_unused:UNUSED_PAD src0_sel:WORD_1 src1_sel:DWORD
	v_or_b32_sdwa v27, v27, v34 dst_sel:DWORD dst_unused:UNUSED_PAD src0_sel:BYTE_0 src1_sel:DWORD
	s_waitcnt lgkmcnt(0)
	v_sub_u16_sdwa v29, v20, v33 dst_sel:DWORD dst_unused:UNUSED_PAD src0_sel:BYTE_3 src1_sel:DWORD
	v_lshlrev_b16_e32 v29, 8, v29
	v_or_b32_sdwa v29, v35, v29 dst_sel:WORD_1 dst_unused:UNUSED_PAD src0_sel:DWORD src1_sel:DWORD
	v_or_b32_sdwa v27, v27, v29 dst_sel:DWORD dst_unused:UNUSED_PAD src0_sel:WORD_0 src1_sel:DWORD
	v_mov_b32_e32 v40, v25
	s_branch .LBB196_1
.LBB196_4:
	s_add_u32 s0, s8, s10
	s_addc_u32 s1, s9, 0
	v_mov_b32_e32 v1, s1
	v_add_co_u32_e32 v0, vcc, s0, v0
	v_addc_co_u32_e32 v1, vcc, 0, v1, vcc
	global_store_byte v[0:1], v34, off
	global_store_byte v[0:1], v24, off offset:256
	global_store_byte v[0:1], v22, off offset:512
	;; [unrolled: 1-line block ×15, first 2 shown]
	s_endpgm
	.section	.rodata,"a",@progbits
	.p2align	6, 0x0
	.amdhsa_kernel _Z6kernelI27subtract_right_partial_tileLj256ELj16ELb0EJPaPiS1_jEEvDpT3_
		.amdhsa_group_segment_fixed_size 512
		.amdhsa_private_segment_fixed_size 0
		.amdhsa_kernarg_size 28
		.amdhsa_user_sgpr_count 6
		.amdhsa_user_sgpr_private_segment_buffer 1
		.amdhsa_user_sgpr_dispatch_ptr 0
		.amdhsa_user_sgpr_queue_ptr 0
		.amdhsa_user_sgpr_kernarg_segment_ptr 1
		.amdhsa_user_sgpr_dispatch_id 0
		.amdhsa_user_sgpr_flat_scratch_init 0
		.amdhsa_user_sgpr_kernarg_preload_length 0
		.amdhsa_user_sgpr_kernarg_preload_offset 0
		.amdhsa_user_sgpr_private_segment_size 0
		.amdhsa_uses_dynamic_stack 0
		.amdhsa_system_sgpr_private_segment_wavefront_offset 0
		.amdhsa_system_sgpr_workgroup_id_x 1
		.amdhsa_system_sgpr_workgroup_id_y 0
		.amdhsa_system_sgpr_workgroup_id_z 0
		.amdhsa_system_sgpr_workgroup_info 0
		.amdhsa_system_vgpr_workitem_id 0
		.amdhsa_next_free_vgpr 45
		.amdhsa_next_free_sgpr 13
		.amdhsa_accum_offset 48
		.amdhsa_reserve_vcc 1
		.amdhsa_reserve_flat_scratch 0
		.amdhsa_float_round_mode_32 0
		.amdhsa_float_round_mode_16_64 0
		.amdhsa_float_denorm_mode_32 3
		.amdhsa_float_denorm_mode_16_64 3
		.amdhsa_dx10_clamp 1
		.amdhsa_ieee_mode 1
		.amdhsa_fp16_overflow 0
		.amdhsa_tg_split 0
		.amdhsa_exception_fp_ieee_invalid_op 0
		.amdhsa_exception_fp_denorm_src 0
		.amdhsa_exception_fp_ieee_div_zero 0
		.amdhsa_exception_fp_ieee_overflow 0
		.amdhsa_exception_fp_ieee_underflow 0
		.amdhsa_exception_fp_ieee_inexact 0
		.amdhsa_exception_int_div_zero 0
	.end_amdhsa_kernel
	.section	.text._Z6kernelI27subtract_right_partial_tileLj256ELj16ELb0EJPaPiS1_jEEvDpT3_,"axG",@progbits,_Z6kernelI27subtract_right_partial_tileLj256ELj16ELb0EJPaPiS1_jEEvDpT3_,comdat
.Lfunc_end196:
	.size	_Z6kernelI27subtract_right_partial_tileLj256ELj16ELb0EJPaPiS1_jEEvDpT3_, .Lfunc_end196-_Z6kernelI27subtract_right_partial_tileLj256ELj16ELb0EJPaPiS1_jEEvDpT3_
                                        ; -- End function
	.section	.AMDGPU.csdata,"",@progbits
; Kernel info:
; codeLenInByte = 1872
; NumSgprs: 17
; NumVgprs: 45
; NumAgprs: 0
; TotalNumVgprs: 45
; ScratchSize: 0
; MemoryBound: 0
; FloatMode: 240
; IeeeMode: 1
; LDSByteSize: 512 bytes/workgroup (compile time only)
; SGPRBlocks: 2
; VGPRBlocks: 5
; NumSGPRsForWavesPerEU: 17
; NumVGPRsForWavesPerEU: 45
; AccumOffset: 48
; Occupancy: 8
; WaveLimiterHint : 1
; COMPUTE_PGM_RSRC2:SCRATCH_EN: 0
; COMPUTE_PGM_RSRC2:USER_SGPR: 6
; COMPUTE_PGM_RSRC2:TRAP_HANDLER: 0
; COMPUTE_PGM_RSRC2:TGID_X_EN: 1
; COMPUTE_PGM_RSRC2:TGID_Y_EN: 0
; COMPUTE_PGM_RSRC2:TGID_Z_EN: 0
; COMPUTE_PGM_RSRC2:TIDIG_COMP_CNT: 0
; COMPUTE_PGM_RSRC3_GFX90A:ACCUM_OFFSET: 11
; COMPUTE_PGM_RSRC3_GFX90A:TG_SPLIT: 0
	.section	.text._Z6kernelI27subtract_right_partial_tileLj256ELj32ELb0EJPaPiS1_jEEvDpT3_,"axG",@progbits,_Z6kernelI27subtract_right_partial_tileLj256ELj32ELb0EJPaPiS1_jEEvDpT3_,comdat
	.protected	_Z6kernelI27subtract_right_partial_tileLj256ELj32ELb0EJPaPiS1_jEEvDpT3_ ; -- Begin function _Z6kernelI27subtract_right_partial_tileLj256ELj32ELb0EJPaPiS1_jEEvDpT3_
	.globl	_Z6kernelI27subtract_right_partial_tileLj256ELj32ELb0EJPaPiS1_jEEvDpT3_
	.p2align	8
	.type	_Z6kernelI27subtract_right_partial_tileLj256ELj32ELb0EJPaPiS1_jEEvDpT3_,@function
_Z6kernelI27subtract_right_partial_tileLj256ELj32ELb0EJPaPiS1_jEEvDpT3_: ; @_Z6kernelI27subtract_right_partial_tileLj256ELj32ELb0EJPaPiS1_jEEvDpT3_
; %bb.0:
	s_load_dwordx4 s[0:3], s[4:5], 0x0
	s_load_dwordx2 s[8:9], s[4:5], 0x10
	s_lshl_b32 s10, s6, 13
	s_movk_i32 s7, 0x1000
	s_load_dword s4, s[4:5], 0x18
	s_waitcnt lgkmcnt(0)
	s_add_u32 s0, s0, s10
	s_addc_u32 s1, s1, 0
	v_mov_b32_e32 v1, s1
	v_add_co_u32_e32 v2, vcc, s0, v0
	v_addc_co_u32_e32 v1, vcc, 0, v1, vcc
	v_add_co_u32_e32 v32, vcc, s7, v2
	v_addc_co_u32_e32 v33, vcc, 0, v1, vcc
	global_load_ubyte v8, v[32:33], off
	global_load_ubyte v7, v[32:33], off offset:256
	global_load_ubyte v6, v[32:33], off offset:512
	;; [unrolled: 1-line block ×15, first 2 shown]
	global_load_ubyte v19, v0, s[0:1]
	global_load_ubyte v18, v0, s[0:1] offset:256
	global_load_ubyte v17, v0, s[0:1] offset:512
	;; [unrolled: 1-line block ×13, first 2 shown]
                                        ; kill: killed $vgpr32 killed $vgpr33
	global_load_ubyte v32, v0, s[0:1] offset:3584
	global_load_ubyte v31, v0, s[0:1] offset:3840
	v_cvt_f32_u32_e32 v33, s4
	s_mov_b32 s7, 0
	s_lshl_b64 s[0:1], s[6:7], 2
	s_add_u32 s0, s2, s0
	v_rcp_iflag_f32_e32 v33, v33
	s_addc_u32 s1, s3, s1
	s_load_dword s2, s[0:1], 0x0
	s_sub_i32 s0, 0, s4
	v_mul_f32_e32 v33, 0x4f7ffffe, v33
	v_cvt_u32_f32_e32 v33, v33
	v_lshlrev_b32_e32 v64, 5, v0
	v_or_b32_e32 v34, 2, v64
	v_or_b32_e32 v35, 3, v64
	v_readfirstlane_b32 s1, v33
	s_mul_i32 s0, s0, s1
	s_mul_hi_u32 s0, s1, s0
	s_add_i32 s1, s1, s0
	s_lshr_b32 s0, s1, 19
	s_mul_i32 s1, s0, s4
	s_sub_i32 s1, 0x2000, s1
	s_add_i32 s3, s0, 1
	s_sub_i32 s5, s1, s4
	s_cmp_ge_u32 s1, s4
	s_cselect_b32 s0, s3, s0
	s_cselect_b32 s1, s5, s1
	s_add_i32 s3, s0, 1
	s_cmp_ge_u32 s1, s4
	s_cselect_b32 s3, s3, s0
	s_add_i32 s3, s3, 1
	v_or_b32_e32 v33, 1, v64
	v_or_b32_e32 v36, 4, v64
	;; [unrolled: 1-line block ×29, first 2 shown]
	v_add_u32_e32 v64, 32, v64
	s_max_u32 s4, s4, 1
	s_branch .LBB197_2
.LBB197_1:                              ;   in Loop: Header=BB197_2 Depth=1
	s_or_b64 exec, exec, s[0:1]
	v_cmp_gt_u32_e32 vcc, s2, v33
	s_waitcnt vmcnt(14)
	v_cndmask_b32_e32 v66, 0, v18, vcc
	v_cmp_gt_u32_e32 vcc, s2, v34
	s_waitcnt vmcnt(13)
	v_cndmask_b32_e32 v67, 0, v17, vcc
	;; [unrolled: 3-line block ×3, first 2 shown]
	v_cmp_gt_u32_e32 vcc, s2, v36
	v_sub_u16_e32 v66, v19, v66
	s_waitcnt vmcnt(11)
	v_cndmask_b32_e32 v69, 0, v29, vcc
	v_cmp_gt_u32_e32 vcc, s2, v37
	v_sub_u16_e32 v67, v18, v67
	v_add_u16_e32 v19, v66, v19
	s_waitcnt vmcnt(10)
	v_cndmask_b32_e32 v66, 0, v28, vcc
	v_cmp_gt_u32_e32 vcc, s2, v38
	v_sub_u16_e32 v68, v17, v68
	v_add_u16_e32 v18, v67, v18
	;; [unrolled: 5-line block ×12, first 2 shown]
	v_cndmask_b32_e32 v69, 0, v8, vcc
	v_cmp_gt_u32_e32 vcc, s2, v49
	v_sub_u16_e32 v67, v20, v67
	v_add_u16_e32 v21, v66, v21
	v_cndmask_b32_e32 v66, 0, v7, vcc
	v_cmp_gt_u32_e32 vcc, s2, v50
	v_sub_u16_e32 v68, v32, v68
	v_add_u16_e32 v20, v67, v20
	;; [unrolled: 4-line block ×14, first 2 shown]
	v_cndmask_b32_e32 v67, 0, v10, vcc
	v_cmp_gt_u32_e32 vcc, s2, v63
	v_add_u16_e32 v14, v68, v14
	v_cndmask_b32_e32 v68, 0, v9, vcc
	s_add_i32 s0, s3, s2
	v_sub_u16_e32 v69, v13, v69
	v_sub_u16_e32 v66, v12, v66
	;; [unrolled: 1-line block ×4, first 2 shown]
	s_and_b32 s2, s0, 0x1fff
	s_add_i32 s4, s4, -1
	v_add_u16_e32 v13, v69, v13
	v_add_u16_e32 v12, v66, v12
	;; [unrolled: 1-line block ×5, first 2 shown]
	s_cmp_lg_u32 s4, 0
	s_barrier
	s_cbranch_scc0 .LBB197_4
.LBB197_2:                              ; =>This Inner Loop Header: Depth=1
	s_waitcnt lgkmcnt(0)
	v_cmp_gt_u32_e32 vcc, s2, v64
	s_waitcnt vmcnt(16)
	v_mov_b32_e32 v65, v9
	s_waitcnt vmcnt(15)
	ds_write_b8 v0, v19 offset:256
	s_waitcnt lgkmcnt(0)
	s_barrier
	s_and_saveexec_b64 s[0:1], vcc
	s_cbranch_execz .LBB197_1
; %bb.3:                                ;   in Loop: Header=BB197_2 Depth=1
	ds_read_u8 v65, v0 offset:257
	s_waitcnt lgkmcnt(0)
	v_sub_u16_e32 v65, v9, v65
	s_branch .LBB197_1
.LBB197_4:
	s_add_u32 s0, s8, s10
	s_addc_u32 s1, s9, 0
	v_mov_b32_e32 v33, s1
	v_add_co_u32_e32 v34, vcc, s0, v0
	v_addc_co_u32_e32 v35, vcc, 0, v33, vcc
	s_movk_i32 s0, 0x1000
	global_store_byte v[34:35], v19, off
	global_store_byte v[34:35], v18, off offset:256
	global_store_byte v[34:35], v17, off offset:512
	;; [unrolled: 1-line block ×15, first 2 shown]
	v_add_co_u32_e32 v18, vcc, s0, v34
	v_addc_co_u32_e32 v19, vcc, 0, v35, vcc
	global_store_byte v[18:19], v8, off
	global_store_byte v[18:19], v7, off offset:256
	global_store_byte v[18:19], v6, off offset:512
	;; [unrolled: 1-line block ×15, first 2 shown]
	s_endpgm
	.section	.rodata,"a",@progbits
	.p2align	6, 0x0
	.amdhsa_kernel _Z6kernelI27subtract_right_partial_tileLj256ELj32ELb0EJPaPiS1_jEEvDpT3_
		.amdhsa_group_segment_fixed_size 512
		.amdhsa_private_segment_fixed_size 0
		.amdhsa_kernarg_size 28
		.amdhsa_user_sgpr_count 6
		.amdhsa_user_sgpr_private_segment_buffer 1
		.amdhsa_user_sgpr_dispatch_ptr 0
		.amdhsa_user_sgpr_queue_ptr 0
		.amdhsa_user_sgpr_kernarg_segment_ptr 1
		.amdhsa_user_sgpr_dispatch_id 0
		.amdhsa_user_sgpr_flat_scratch_init 0
		.amdhsa_user_sgpr_kernarg_preload_length 0
		.amdhsa_user_sgpr_kernarg_preload_offset 0
		.amdhsa_user_sgpr_private_segment_size 0
		.amdhsa_uses_dynamic_stack 0
		.amdhsa_system_sgpr_private_segment_wavefront_offset 0
		.amdhsa_system_sgpr_workgroup_id_x 1
		.amdhsa_system_sgpr_workgroup_id_y 0
		.amdhsa_system_sgpr_workgroup_id_z 0
		.amdhsa_system_sgpr_workgroup_info 0
		.amdhsa_system_vgpr_workitem_id 0
		.amdhsa_next_free_vgpr 70
		.amdhsa_next_free_sgpr 11
		.amdhsa_accum_offset 72
		.amdhsa_reserve_vcc 1
		.amdhsa_reserve_flat_scratch 0
		.amdhsa_float_round_mode_32 0
		.amdhsa_float_round_mode_16_64 0
		.amdhsa_float_denorm_mode_32 3
		.amdhsa_float_denorm_mode_16_64 3
		.amdhsa_dx10_clamp 1
		.amdhsa_ieee_mode 1
		.amdhsa_fp16_overflow 0
		.amdhsa_tg_split 0
		.amdhsa_exception_fp_ieee_invalid_op 0
		.amdhsa_exception_fp_denorm_src 0
		.amdhsa_exception_fp_ieee_div_zero 0
		.amdhsa_exception_fp_ieee_overflow 0
		.amdhsa_exception_fp_ieee_underflow 0
		.amdhsa_exception_fp_ieee_inexact 0
		.amdhsa_exception_int_div_zero 0
	.end_amdhsa_kernel
	.section	.text._Z6kernelI27subtract_right_partial_tileLj256ELj32ELb0EJPaPiS1_jEEvDpT3_,"axG",@progbits,_Z6kernelI27subtract_right_partial_tileLj256ELj32ELb0EJPaPiS1_jEEvDpT3_,comdat
.Lfunc_end197:
	.size	_Z6kernelI27subtract_right_partial_tileLj256ELj32ELb0EJPaPiS1_jEEvDpT3_, .Lfunc_end197-_Z6kernelI27subtract_right_partial_tileLj256ELj32ELb0EJPaPiS1_jEEvDpT3_
                                        ; -- End function
	.section	.AMDGPU.csdata,"",@progbits
; Kernel info:
; codeLenInByte = 1524
; NumSgprs: 15
; NumVgprs: 70
; NumAgprs: 0
; TotalNumVgprs: 70
; ScratchSize: 0
; MemoryBound: 0
; FloatMode: 240
; IeeeMode: 1
; LDSByteSize: 512 bytes/workgroup (compile time only)
; SGPRBlocks: 1
; VGPRBlocks: 8
; NumSGPRsForWavesPerEU: 15
; NumVGPRsForWavesPerEU: 70
; AccumOffset: 72
; Occupancy: 7
; WaveLimiterHint : 1
; COMPUTE_PGM_RSRC2:SCRATCH_EN: 0
; COMPUTE_PGM_RSRC2:USER_SGPR: 6
; COMPUTE_PGM_RSRC2:TRAP_HANDLER: 0
; COMPUTE_PGM_RSRC2:TGID_X_EN: 1
; COMPUTE_PGM_RSRC2:TGID_Y_EN: 0
; COMPUTE_PGM_RSRC2:TGID_Z_EN: 0
; COMPUTE_PGM_RSRC2:TIDIG_COMP_CNT: 0
; COMPUTE_PGM_RSRC3_GFX90A:ACCUM_OFFSET: 17
; COMPUTE_PGM_RSRC3_GFX90A:TG_SPLIT: 0
	.section	.text._Z6kernelI27subtract_right_partial_tileLj256ELj1ELb0EJPxPiS1_jEEvDpT3_,"axG",@progbits,_Z6kernelI27subtract_right_partial_tileLj256ELj1ELb0EJPxPiS1_jEEvDpT3_,comdat
	.protected	_Z6kernelI27subtract_right_partial_tileLj256ELj1ELb0EJPxPiS1_jEEvDpT3_ ; -- Begin function _Z6kernelI27subtract_right_partial_tileLj256ELj1ELb0EJPxPiS1_jEEvDpT3_
	.globl	_Z6kernelI27subtract_right_partial_tileLj256ELj1ELb0EJPxPiS1_jEEvDpT3_
	.p2align	8
	.type	_Z6kernelI27subtract_right_partial_tileLj256ELj1ELb0EJPxPiS1_jEEvDpT3_,@function
_Z6kernelI27subtract_right_partial_tileLj256ELj1ELb0EJPxPiS1_jEEvDpT3_: ; @_Z6kernelI27subtract_right_partial_tileLj256ELj1ELb0EJPxPiS1_jEEvDpT3_
; %bb.0:
	s_load_dwordx4 s[8:11], s[4:5], 0x0
	s_load_dwordx2 s[0:1], s[4:5], 0x10
	s_lshl_b32 s12, s6, 8
	s_mov_b32 s13, 0
	s_lshl_b64 s[2:3], s[12:13], 3
	s_waitcnt lgkmcnt(0)
	s_add_u32 s8, s8, s2
	s_addc_u32 s9, s9, s3
	v_lshlrev_b32_e32 v1, 3, v0
	global_load_dwordx2 v[2:3], v1, s[8:9]
	s_load_dword s8, s[4:5], 0x18
	s_mov_b32 s7, s13
	s_lshl_b64 s[4:5], s[6:7], 2
	s_add_u32 s4, s10, s4
	s_addc_u32 s5, s11, s5
	s_waitcnt lgkmcnt(0)
	v_cvt_f32_u32_e32 v4, s8
	s_load_dword s6, s[4:5], 0x0
	s_sub_i32 s4, 0, s8
	v_add_u32_e32 v6, 1, v0
	v_rcp_iflag_f32_e32 v4, v4
	v_or_b32_e32 v7, 0x800, v1
	v_mul_f32_e32 v4, 0x4f7ffffe, v4
	v_cvt_u32_f32_e32 v4, v4
	v_readfirstlane_b32 s5, v4
	s_mul_i32 s4, s4, s5
	s_mul_hi_u32 s4, s5, s4
	s_add_i32 s5, s5, s4
	s_lshr_b32 s4, s5, 24
	s_mul_i32 s5, s4, s8
	s_sub_i32 s5, 0x100, s5
	s_add_i32 s7, s4, 1
	s_sub_i32 s9, s5, s8
	s_cmp_ge_u32 s5, s8
	s_cselect_b32 s4, s7, s4
	s_cselect_b32 s5, s9, s5
	s_add_i32 s7, s4, 1
	s_cmp_ge_u32 s5, s8
	s_cselect_b32 s7, s7, s4
	s_add_i32 s7, s7, 1
	s_max_u32 s8, s8, 1
	s_branch .LBB198_2
.LBB198_1:                              ;   in Loop: Header=BB198_2 Depth=1
	s_or_b64 exec, exec, s[4:5]
	s_add_i32 s4, s7, s6
	v_add_co_u32_e32 v2, vcc, v4, v2
	s_and_b32 s6, s4, 0xff
	s_add_i32 s8, s8, -1
	v_addc_co_u32_e32 v3, vcc, v5, v3, vcc
	s_cmp_lg_u32 s8, 0
	s_barrier
	s_cbranch_scc0 .LBB198_4
.LBB198_2:                              ; =>This Inner Loop Header: Depth=1
	s_waitcnt lgkmcnt(0)
	v_cmp_gt_u32_e32 vcc, s6, v6
	s_waitcnt vmcnt(0)
	v_pk_mov_b32 v[4:5], v[2:3], v[2:3] op_sel:[0,1]
	ds_write_b64 v1, v[2:3] offset:2048
	s_waitcnt lgkmcnt(0)
	s_barrier
	s_and_saveexec_b64 s[4:5], vcc
	s_cbranch_execz .LBB198_1
; %bb.3:                                ;   in Loop: Header=BB198_2 Depth=1
	ds_read_b64 v[4:5], v7 offset:8
	s_waitcnt lgkmcnt(0)
	v_sub_co_u32_e32 v4, vcc, v2, v4
	v_subb_co_u32_e32 v5, vcc, v3, v5, vcc
	s_branch .LBB198_1
.LBB198_4:
	s_add_u32 s0, s0, s2
	s_addc_u32 s1, s1, s3
	v_lshlrev_b32_e32 v0, 3, v0
	global_store_dwordx2 v0, v[2:3], s[0:1]
	s_endpgm
	.section	.rodata,"a",@progbits
	.p2align	6, 0x0
	.amdhsa_kernel _Z6kernelI27subtract_right_partial_tileLj256ELj1ELb0EJPxPiS1_jEEvDpT3_
		.amdhsa_group_segment_fixed_size 4096
		.amdhsa_private_segment_fixed_size 0
		.amdhsa_kernarg_size 28
		.amdhsa_user_sgpr_count 6
		.amdhsa_user_sgpr_private_segment_buffer 1
		.amdhsa_user_sgpr_dispatch_ptr 0
		.amdhsa_user_sgpr_queue_ptr 0
		.amdhsa_user_sgpr_kernarg_segment_ptr 1
		.amdhsa_user_sgpr_dispatch_id 0
		.amdhsa_user_sgpr_flat_scratch_init 0
		.amdhsa_user_sgpr_kernarg_preload_length 0
		.amdhsa_user_sgpr_kernarg_preload_offset 0
		.amdhsa_user_sgpr_private_segment_size 0
		.amdhsa_uses_dynamic_stack 0
		.amdhsa_system_sgpr_private_segment_wavefront_offset 0
		.amdhsa_system_sgpr_workgroup_id_x 1
		.amdhsa_system_sgpr_workgroup_id_y 0
		.amdhsa_system_sgpr_workgroup_id_z 0
		.amdhsa_system_sgpr_workgroup_info 0
		.amdhsa_system_vgpr_workitem_id 0
		.amdhsa_next_free_vgpr 8
		.amdhsa_next_free_sgpr 14
		.amdhsa_accum_offset 8
		.amdhsa_reserve_vcc 1
		.amdhsa_reserve_flat_scratch 0
		.amdhsa_float_round_mode_32 0
		.amdhsa_float_round_mode_16_64 0
		.amdhsa_float_denorm_mode_32 3
		.amdhsa_float_denorm_mode_16_64 3
		.amdhsa_dx10_clamp 1
		.amdhsa_ieee_mode 1
		.amdhsa_fp16_overflow 0
		.amdhsa_tg_split 0
		.amdhsa_exception_fp_ieee_invalid_op 0
		.amdhsa_exception_fp_denorm_src 0
		.amdhsa_exception_fp_ieee_div_zero 0
		.amdhsa_exception_fp_ieee_overflow 0
		.amdhsa_exception_fp_ieee_underflow 0
		.amdhsa_exception_fp_ieee_inexact 0
		.amdhsa_exception_int_div_zero 0
	.end_amdhsa_kernel
	.section	.text._Z6kernelI27subtract_right_partial_tileLj256ELj1ELb0EJPxPiS1_jEEvDpT3_,"axG",@progbits,_Z6kernelI27subtract_right_partial_tileLj256ELj1ELb0EJPxPiS1_jEEvDpT3_,comdat
.Lfunc_end198:
	.size	_Z6kernelI27subtract_right_partial_tileLj256ELj1ELb0EJPxPiS1_jEEvDpT3_, .Lfunc_end198-_Z6kernelI27subtract_right_partial_tileLj256ELj1ELb0EJPxPiS1_jEEvDpT3_
                                        ; -- End function
	.section	.AMDGPU.csdata,"",@progbits
; Kernel info:
; codeLenInByte = 332
; NumSgprs: 18
; NumVgprs: 8
; NumAgprs: 0
; TotalNumVgprs: 8
; ScratchSize: 0
; MemoryBound: 0
; FloatMode: 240
; IeeeMode: 1
; LDSByteSize: 4096 bytes/workgroup (compile time only)
; SGPRBlocks: 2
; VGPRBlocks: 0
; NumSGPRsForWavesPerEU: 18
; NumVGPRsForWavesPerEU: 8
; AccumOffset: 8
; Occupancy: 8
; WaveLimiterHint : 0
; COMPUTE_PGM_RSRC2:SCRATCH_EN: 0
; COMPUTE_PGM_RSRC2:USER_SGPR: 6
; COMPUTE_PGM_RSRC2:TRAP_HANDLER: 0
; COMPUTE_PGM_RSRC2:TGID_X_EN: 1
; COMPUTE_PGM_RSRC2:TGID_Y_EN: 0
; COMPUTE_PGM_RSRC2:TGID_Z_EN: 0
; COMPUTE_PGM_RSRC2:TIDIG_COMP_CNT: 0
; COMPUTE_PGM_RSRC3_GFX90A:ACCUM_OFFSET: 1
; COMPUTE_PGM_RSRC3_GFX90A:TG_SPLIT: 0
	.section	.text._Z6kernelI27subtract_right_partial_tileLj256ELj3ELb0EJPxPiS1_jEEvDpT3_,"axG",@progbits,_Z6kernelI27subtract_right_partial_tileLj256ELj3ELb0EJPxPiS1_jEEvDpT3_,comdat
	.protected	_Z6kernelI27subtract_right_partial_tileLj256ELj3ELb0EJPxPiS1_jEEvDpT3_ ; -- Begin function _Z6kernelI27subtract_right_partial_tileLj256ELj3ELb0EJPxPiS1_jEEvDpT3_
	.globl	_Z6kernelI27subtract_right_partial_tileLj256ELj3ELb0EJPxPiS1_jEEvDpT3_
	.p2align	8
	.type	_Z6kernelI27subtract_right_partial_tileLj256ELj3ELb0EJPxPiS1_jEEvDpT3_,@function
_Z6kernelI27subtract_right_partial_tileLj256ELj3ELb0EJPxPiS1_jEEvDpT3_: ; @_Z6kernelI27subtract_right_partial_tileLj256ELj3ELb0EJPxPiS1_jEEvDpT3_
; %bb.0:
	s_load_dwordx4 s[0:3], s[4:5], 0x0
	s_load_dwordx2 s[8:9], s[4:5], 0x10
	s_mul_i32 s12, s6, 0x300
	s_mov_b32 s13, 0
	s_lshl_b64 s[10:11], s[12:13], 3
	s_waitcnt lgkmcnt(0)
	s_add_u32 s0, s0, s10
	s_addc_u32 s1, s1, s11
	v_lshlrev_b32_e32 v1, 3, v0
	v_mov_b32_e32 v2, s1
	v_add_co_u32_e32 v6, vcc, s0, v1
	v_addc_co_u32_e32 v7, vcc, 0, v2, vcc
	global_load_dwordx2 v[2:3], v1, s[0:1]
	global_load_dwordx2 v[4:5], v1, s[0:1] offset:2048
	s_movk_i32 s0, 0x1000
	v_add_co_u32_e32 v6, vcc, s0, v6
	v_addc_co_u32_e32 v7, vcc, 0, v7, vcc
	global_load_dwordx2 v[6:7], v[6:7], off
	s_load_dword s4, s[4:5], 0x18
	s_mov_b32 s7, s13
	s_lshl_b64 s[0:1], s[6:7], 2
	s_add_u32 s0, s2, s0
	s_addc_u32 s1, s3, s1
	s_waitcnt lgkmcnt(0)
	v_cvt_f32_u32_e32 v8, s4
	s_load_dword s2, s[0:1], 0x0
	s_sub_i32 s0, 0, s4
	v_mad_u32_u24 v10, v0, 3, 1
	v_rcp_iflag_f32_e32 v8, v8
	v_mad_u32_u24 v11, v0, 3, 2
	v_mad_u32_u24 v12, v0, 3, 3
	v_or_b32_e32 v13, 0x800, v1
	v_mul_f32_e32 v8, 0x4f7ffffe, v8
	v_cvt_u32_f32_e32 v8, v8
	v_readfirstlane_b32 s1, v8
	s_mul_i32 s0, s0, s1
	s_mul_hi_u32 s0, s1, s0
	s_add_i32 s1, s1, s0
	s_mul_hi_u32 s0, s1, 0x300
	s_mul_i32 s1, s0, s4
	s_sub_i32 s1, 0x300, s1
	s_add_i32 s3, s0, 1
	s_sub_i32 s5, s1, s4
	s_cmp_ge_u32 s1, s4
	s_cselect_b32 s0, s3, s0
	s_cselect_b32 s1, s5, s1
	s_add_i32 s3, s0, 1
	s_cmp_ge_u32 s1, s4
	s_cselect_b32 s3, s3, s0
	s_add_i32 s3, s3, 1
	s_max_u32 s4, s4, 1
	s_branch .LBB199_2
.LBB199_1:                              ;   in Loop: Header=BB199_2 Depth=1
	s_or_b64 exec, exec, s[0:1]
	v_cmp_gt_u32_e32 vcc, s2, v10
	v_cndmask_b32_e32 v15, 0, v4, vcc
	v_cndmask_b32_e32 v14, 0, v5, vcc
	v_sub_co_u32_e32 v15, vcc, v2, v15
	v_subb_co_u32_e32 v14, vcc, v3, v14, vcc
	v_cmp_gt_u32_e32 vcc, s2, v11
	v_cndmask_b32_e32 v17, 0, v6, vcc
	v_cndmask_b32_e32 v16, 0, v7, vcc
	v_sub_co_u32_e32 v17, vcc, v4, v17
	v_subb_co_u32_e32 v16, vcc, v5, v16, vcc
	v_add_co_u32_e32 v2, vcc, v15, v2
	s_add_i32 s0, s3, s2
	v_addc_co_u32_e32 v3, vcc, v14, v3, vcc
	s_mul_hi_u32 s1, s0, 0xaaaaaaab
	v_add_co_u32_e32 v4, vcc, v17, v4
	s_lshr_b32 s1, s1, 9
	v_addc_co_u32_e32 v5, vcc, v16, v5, vcc
	s_mulk_i32 s1, 0x300
	v_add_co_u32_e32 v6, vcc, v8, v6
	s_sub_i32 s2, s0, s1
	s_add_i32 s4, s4, -1
	v_addc_co_u32_e32 v7, vcc, v9, v7, vcc
	s_cmp_lg_u32 s4, 0
	s_barrier
	s_cbranch_scc0 .LBB199_4
.LBB199_2:                              ; =>This Inner Loop Header: Depth=1
	s_waitcnt lgkmcnt(0)
	v_cmp_gt_u32_e32 vcc, s2, v12
	s_waitcnt vmcnt(0)
	v_pk_mov_b32 v[8:9], v[6:7], v[6:7] op_sel:[0,1]
	ds_write_b64 v1, v[2:3] offset:2048
	s_waitcnt lgkmcnt(0)
	s_barrier
	s_and_saveexec_b64 s[0:1], vcc
	s_cbranch_execz .LBB199_1
; %bb.3:                                ;   in Loop: Header=BB199_2 Depth=1
	ds_read_b64 v[8:9], v13 offset:8
	s_waitcnt lgkmcnt(0)
	v_sub_co_u32_e32 v8, vcc, v6, v8
	v_subb_co_u32_e32 v9, vcc, v7, v9, vcc
	s_branch .LBB199_1
.LBB199_4:
	s_add_u32 s0, s8, s10
	s_addc_u32 s1, s9, s11
	v_lshlrev_b32_e32 v0, 3, v0
	v_mov_b32_e32 v1, s1
	v_add_co_u32_e32 v8, vcc, s0, v0
	v_addc_co_u32_e32 v1, vcc, 0, v1, vcc
	global_store_dwordx2 v0, v[2:3], s[0:1]
	global_store_dwordx2 v0, v[4:5], s[0:1] offset:2048
	v_add_co_u32_e32 v0, vcc, 0x1000, v8
	v_addc_co_u32_e32 v1, vcc, 0, v1, vcc
	global_store_dwordx2 v[0:1], v[6:7], off
	s_endpgm
	.section	.rodata,"a",@progbits
	.p2align	6, 0x0
	.amdhsa_kernel _Z6kernelI27subtract_right_partial_tileLj256ELj3ELb0EJPxPiS1_jEEvDpT3_
		.amdhsa_group_segment_fixed_size 4096
		.amdhsa_private_segment_fixed_size 0
		.amdhsa_kernarg_size 28
		.amdhsa_user_sgpr_count 6
		.amdhsa_user_sgpr_private_segment_buffer 1
		.amdhsa_user_sgpr_dispatch_ptr 0
		.amdhsa_user_sgpr_queue_ptr 0
		.amdhsa_user_sgpr_kernarg_segment_ptr 1
		.amdhsa_user_sgpr_dispatch_id 0
		.amdhsa_user_sgpr_flat_scratch_init 0
		.amdhsa_user_sgpr_kernarg_preload_length 0
		.amdhsa_user_sgpr_kernarg_preload_offset 0
		.amdhsa_user_sgpr_private_segment_size 0
		.amdhsa_uses_dynamic_stack 0
		.amdhsa_system_sgpr_private_segment_wavefront_offset 0
		.amdhsa_system_sgpr_workgroup_id_x 1
		.amdhsa_system_sgpr_workgroup_id_y 0
		.amdhsa_system_sgpr_workgroup_id_z 0
		.amdhsa_system_sgpr_workgroup_info 0
		.amdhsa_system_vgpr_workitem_id 0
		.amdhsa_next_free_vgpr 18
		.amdhsa_next_free_sgpr 14
		.amdhsa_accum_offset 20
		.amdhsa_reserve_vcc 1
		.amdhsa_reserve_flat_scratch 0
		.amdhsa_float_round_mode_32 0
		.amdhsa_float_round_mode_16_64 0
		.amdhsa_float_denorm_mode_32 3
		.amdhsa_float_denorm_mode_16_64 3
		.amdhsa_dx10_clamp 1
		.amdhsa_ieee_mode 1
		.amdhsa_fp16_overflow 0
		.amdhsa_tg_split 0
		.amdhsa_exception_fp_ieee_invalid_op 0
		.amdhsa_exception_fp_denorm_src 0
		.amdhsa_exception_fp_ieee_div_zero 0
		.amdhsa_exception_fp_ieee_overflow 0
		.amdhsa_exception_fp_ieee_underflow 0
		.amdhsa_exception_fp_ieee_inexact 0
		.amdhsa_exception_int_div_zero 0
	.end_amdhsa_kernel
	.section	.text._Z6kernelI27subtract_right_partial_tileLj256ELj3ELb0EJPxPiS1_jEEvDpT3_,"axG",@progbits,_Z6kernelI27subtract_right_partial_tileLj256ELj3ELb0EJPxPiS1_jEEvDpT3_,comdat
.Lfunc_end199:
	.size	_Z6kernelI27subtract_right_partial_tileLj256ELj3ELb0EJPxPiS1_jEEvDpT3_, .Lfunc_end199-_Z6kernelI27subtract_right_partial_tileLj256ELj3ELb0EJPxPiS1_jEEvDpT3_
                                        ; -- End function
	.section	.AMDGPU.csdata,"",@progbits
; Kernel info:
; codeLenInByte = 508
; NumSgprs: 18
; NumVgprs: 18
; NumAgprs: 0
; TotalNumVgprs: 18
; ScratchSize: 0
; MemoryBound: 0
; FloatMode: 240
; IeeeMode: 1
; LDSByteSize: 4096 bytes/workgroup (compile time only)
; SGPRBlocks: 2
; VGPRBlocks: 2
; NumSGPRsForWavesPerEU: 18
; NumVGPRsForWavesPerEU: 18
; AccumOffset: 20
; Occupancy: 8
; WaveLimiterHint : 1
; COMPUTE_PGM_RSRC2:SCRATCH_EN: 0
; COMPUTE_PGM_RSRC2:USER_SGPR: 6
; COMPUTE_PGM_RSRC2:TRAP_HANDLER: 0
; COMPUTE_PGM_RSRC2:TGID_X_EN: 1
; COMPUTE_PGM_RSRC2:TGID_Y_EN: 0
; COMPUTE_PGM_RSRC2:TGID_Z_EN: 0
; COMPUTE_PGM_RSRC2:TIDIG_COMP_CNT: 0
; COMPUTE_PGM_RSRC3_GFX90A:ACCUM_OFFSET: 4
; COMPUTE_PGM_RSRC3_GFX90A:TG_SPLIT: 0
	.section	.text._Z6kernelI27subtract_right_partial_tileLj256ELj4ELb0EJPxPiS1_jEEvDpT3_,"axG",@progbits,_Z6kernelI27subtract_right_partial_tileLj256ELj4ELb0EJPxPiS1_jEEvDpT3_,comdat
	.protected	_Z6kernelI27subtract_right_partial_tileLj256ELj4ELb0EJPxPiS1_jEEvDpT3_ ; -- Begin function _Z6kernelI27subtract_right_partial_tileLj256ELj4ELb0EJPxPiS1_jEEvDpT3_
	.globl	_Z6kernelI27subtract_right_partial_tileLj256ELj4ELb0EJPxPiS1_jEEvDpT3_
	.p2align	8
	.type	_Z6kernelI27subtract_right_partial_tileLj256ELj4ELb0EJPxPiS1_jEEvDpT3_,@function
_Z6kernelI27subtract_right_partial_tileLj256ELj4ELb0EJPxPiS1_jEEvDpT3_: ; @_Z6kernelI27subtract_right_partial_tileLj256ELj4ELb0EJPxPiS1_jEEvDpT3_
; %bb.0:
	s_load_dwordx4 s[0:3], s[4:5], 0x0
	s_load_dwordx2 s[8:9], s[4:5], 0x10
	s_lshl_b32 s12, s6, 10
	s_mov_b32 s13, 0
	s_lshl_b64 s[10:11], s[12:13], 3
	s_waitcnt lgkmcnt(0)
	s_add_u32 s0, s0, s10
	s_addc_u32 s1, s1, s11
	v_lshlrev_b32_e32 v1, 3, v0
	v_mov_b32_e32 v2, s1
	v_add_co_u32_e32 v6, vcc, s0, v1
	v_addc_co_u32_e32 v7, vcc, 0, v2, vcc
	global_load_dwordx2 v[2:3], v1, s[0:1]
	global_load_dwordx2 v[4:5], v1, s[0:1] offset:2048
	s_movk_i32 s0, 0x1000
	v_add_co_u32_e32 v10, vcc, s0, v6
	v_addc_co_u32_e32 v11, vcc, 0, v7, vcc
	global_load_dwordx2 v[6:7], v[10:11], off
	global_load_dwordx2 v[8:9], v[10:11], off offset:2048
	s_load_dword s4, s[4:5], 0x18
	s_mov_b32 s7, s13
	s_lshl_b64 s[0:1], s[6:7], 2
	s_add_u32 s0, s2, s0
	s_addc_u32 s1, s3, s1
	s_waitcnt lgkmcnt(0)
	v_cvt_f32_u32_e32 v10, s4
	s_load_dword s2, s[0:1], 0x0
	s_sub_i32 s0, 0, s4
	v_or_b32_e32 v16, 0x800, v1
	v_rcp_iflag_f32_e32 v10, v10
	v_mul_f32_e32 v10, 0x4f7ffffe, v10
	v_cvt_u32_f32_e32 v10, v10
	v_readfirstlane_b32 s1, v10
	s_mul_i32 s0, s0, s1
	s_mul_hi_u32 s0, s1, s0
	s_add_i32 s1, s1, s0
	s_lshr_b32 s0, s1, 22
	s_mul_i32 s1, s0, s4
	s_sub_i32 s1, 0x400, s1
	s_add_i32 s3, s0, 1
	s_sub_i32 s5, s1, s4
	s_cmp_ge_u32 s1, s4
	s_cselect_b32 s0, s3, s0
	s_cselect_b32 s1, s5, s1
	s_add_i32 s3, s0, 1
	s_cmp_ge_u32 s1, s4
	s_cselect_b32 s3, s3, s0
	v_lshlrev_b32_e32 v10, 2, v0
	s_add_i32 s3, s3, 1
	v_or_b32_e32 v12, 1, v10
	v_or_b32_e32 v13, 2, v10
	v_or_b32_e32 v14, 3, v10
	v_add_u32_e32 v15, 4, v10
	s_max_u32 s4, s4, 1
	s_branch .LBB200_2
.LBB200_1:                              ;   in Loop: Header=BB200_2 Depth=1
	s_or_b64 exec, exec, s[0:1]
	v_cmp_gt_u32_e32 vcc, s2, v12
	v_cndmask_b32_e32 v18, 0, v4, vcc
	v_cndmask_b32_e32 v17, 0, v5, vcc
	v_sub_co_u32_e32 v18, vcc, v2, v18
	v_subb_co_u32_e32 v17, vcc, v3, v17, vcc
	v_cmp_gt_u32_e32 vcc, s2, v13
	v_cndmask_b32_e32 v20, 0, v6, vcc
	v_cndmask_b32_e32 v19, 0, v7, vcc
	v_sub_co_u32_e32 v20, vcc, v4, v20
	v_subb_co_u32_e32 v19, vcc, v5, v19, vcc
	;; [unrolled: 5-line block ×3, first 2 shown]
	v_add_co_u32_e32 v2, vcc, v18, v2
	v_addc_co_u32_e32 v3, vcc, v17, v3, vcc
	v_add_co_u32_e32 v4, vcc, v20, v4
	v_addc_co_u32_e32 v5, vcc, v19, v5, vcc
	;; [unrolled: 2-line block ×3, first 2 shown]
	s_add_i32 s0, s3, s2
	v_add_co_u32_e32 v8, vcc, v10, v8
	s_and_b32 s2, s0, 0x3ff
	s_add_i32 s4, s4, -1
	v_addc_co_u32_e32 v9, vcc, v11, v9, vcc
	s_cmp_lg_u32 s4, 0
	s_barrier
	s_cbranch_scc0 .LBB200_4
.LBB200_2:                              ; =>This Inner Loop Header: Depth=1
	s_waitcnt lgkmcnt(0)
	v_cmp_gt_u32_e32 vcc, s2, v15
	s_waitcnt vmcnt(0)
	v_pk_mov_b32 v[10:11], v[8:9], v[8:9] op_sel:[0,1]
	ds_write_b64 v1, v[2:3] offset:2048
	s_waitcnt lgkmcnt(0)
	s_barrier
	s_and_saveexec_b64 s[0:1], vcc
	s_cbranch_execz .LBB200_1
; %bb.3:                                ;   in Loop: Header=BB200_2 Depth=1
	ds_read_b64 v[10:11], v16 offset:8
	s_waitcnt lgkmcnt(0)
	v_sub_co_u32_e32 v10, vcc, v8, v10
	v_subb_co_u32_e32 v11, vcc, v9, v11, vcc
	s_branch .LBB200_1
.LBB200_4:
	s_add_u32 s0, s8, s10
	s_addc_u32 s1, s9, s11
	v_lshlrev_b32_e32 v0, 3, v0
	v_mov_b32_e32 v1, s1
	v_add_co_u32_e32 v10, vcc, s0, v0
	v_addc_co_u32_e32 v1, vcc, 0, v1, vcc
	global_store_dwordx2 v0, v[2:3], s[0:1]
	global_store_dwordx2 v0, v[4:5], s[0:1] offset:2048
	v_add_co_u32_e32 v0, vcc, 0x1000, v10
	v_addc_co_u32_e32 v1, vcc, 0, v1, vcc
	global_store_dwordx2 v[0:1], v[6:7], off
	global_store_dwordx2 v[0:1], v[8:9], off offset:2048
	s_endpgm
	.section	.rodata,"a",@progbits
	.p2align	6, 0x0
	.amdhsa_kernel _Z6kernelI27subtract_right_partial_tileLj256ELj4ELb0EJPxPiS1_jEEvDpT3_
		.amdhsa_group_segment_fixed_size 4096
		.amdhsa_private_segment_fixed_size 0
		.amdhsa_kernarg_size 28
		.amdhsa_user_sgpr_count 6
		.amdhsa_user_sgpr_private_segment_buffer 1
		.amdhsa_user_sgpr_dispatch_ptr 0
		.amdhsa_user_sgpr_queue_ptr 0
		.amdhsa_user_sgpr_kernarg_segment_ptr 1
		.amdhsa_user_sgpr_dispatch_id 0
		.amdhsa_user_sgpr_flat_scratch_init 0
		.amdhsa_user_sgpr_kernarg_preload_length 0
		.amdhsa_user_sgpr_kernarg_preload_offset 0
		.amdhsa_user_sgpr_private_segment_size 0
		.amdhsa_uses_dynamic_stack 0
		.amdhsa_system_sgpr_private_segment_wavefront_offset 0
		.amdhsa_system_sgpr_workgroup_id_x 1
		.amdhsa_system_sgpr_workgroup_id_y 0
		.amdhsa_system_sgpr_workgroup_id_z 0
		.amdhsa_system_sgpr_workgroup_info 0
		.amdhsa_system_vgpr_workitem_id 0
		.amdhsa_next_free_vgpr 23
		.amdhsa_next_free_sgpr 14
		.amdhsa_accum_offset 24
		.amdhsa_reserve_vcc 1
		.amdhsa_reserve_flat_scratch 0
		.amdhsa_float_round_mode_32 0
		.amdhsa_float_round_mode_16_64 0
		.amdhsa_float_denorm_mode_32 3
		.amdhsa_float_denorm_mode_16_64 3
		.amdhsa_dx10_clamp 1
		.amdhsa_ieee_mode 1
		.amdhsa_fp16_overflow 0
		.amdhsa_tg_split 0
		.amdhsa_exception_fp_ieee_invalid_op 0
		.amdhsa_exception_fp_denorm_src 0
		.amdhsa_exception_fp_ieee_div_zero 0
		.amdhsa_exception_fp_ieee_overflow 0
		.amdhsa_exception_fp_ieee_underflow 0
		.amdhsa_exception_fp_ieee_inexact 0
		.amdhsa_exception_int_div_zero 0
	.end_amdhsa_kernel
	.section	.text._Z6kernelI27subtract_right_partial_tileLj256ELj4ELb0EJPxPiS1_jEEvDpT3_,"axG",@progbits,_Z6kernelI27subtract_right_partial_tileLj256ELj4ELb0EJPxPiS1_jEEvDpT3_,comdat
.Lfunc_end200:
	.size	_Z6kernelI27subtract_right_partial_tileLj256ELj4ELb0EJPxPiS1_jEEvDpT3_, .Lfunc_end200-_Z6kernelI27subtract_right_partial_tileLj256ELj4ELb0EJPxPiS1_jEEvDpT3_
                                        ; -- End function
	.section	.AMDGPU.csdata,"",@progbits
; Kernel info:
; codeLenInByte = 528
; NumSgprs: 18
; NumVgprs: 23
; NumAgprs: 0
; TotalNumVgprs: 23
; ScratchSize: 0
; MemoryBound: 0
; FloatMode: 240
; IeeeMode: 1
; LDSByteSize: 4096 bytes/workgroup (compile time only)
; SGPRBlocks: 2
; VGPRBlocks: 2
; NumSGPRsForWavesPerEU: 18
; NumVGPRsForWavesPerEU: 23
; AccumOffset: 24
; Occupancy: 8
; WaveLimiterHint : 1
; COMPUTE_PGM_RSRC2:SCRATCH_EN: 0
; COMPUTE_PGM_RSRC2:USER_SGPR: 6
; COMPUTE_PGM_RSRC2:TRAP_HANDLER: 0
; COMPUTE_PGM_RSRC2:TGID_X_EN: 1
; COMPUTE_PGM_RSRC2:TGID_Y_EN: 0
; COMPUTE_PGM_RSRC2:TGID_Z_EN: 0
; COMPUTE_PGM_RSRC2:TIDIG_COMP_CNT: 0
; COMPUTE_PGM_RSRC3_GFX90A:ACCUM_OFFSET: 5
; COMPUTE_PGM_RSRC3_GFX90A:TG_SPLIT: 0
	.section	.text._Z6kernelI27subtract_right_partial_tileLj256ELj8ELb0EJPxPiS1_jEEvDpT3_,"axG",@progbits,_Z6kernelI27subtract_right_partial_tileLj256ELj8ELb0EJPxPiS1_jEEvDpT3_,comdat
	.protected	_Z6kernelI27subtract_right_partial_tileLj256ELj8ELb0EJPxPiS1_jEEvDpT3_ ; -- Begin function _Z6kernelI27subtract_right_partial_tileLj256ELj8ELb0EJPxPiS1_jEEvDpT3_
	.globl	_Z6kernelI27subtract_right_partial_tileLj256ELj8ELb0EJPxPiS1_jEEvDpT3_
	.p2align	8
	.type	_Z6kernelI27subtract_right_partial_tileLj256ELj8ELb0EJPxPiS1_jEEvDpT3_,@function
_Z6kernelI27subtract_right_partial_tileLj256ELj8ELb0EJPxPiS1_jEEvDpT3_: ; @_Z6kernelI27subtract_right_partial_tileLj256ELj8ELb0EJPxPiS1_jEEvDpT3_
; %bb.0:
	s_load_dwordx4 s[0:3], s[4:5], 0x0
	s_load_dwordx2 s[8:9], s[4:5], 0x10
	s_lshl_b32 s12, s6, 11
	s_mov_b32 s13, 0
	s_lshl_b64 s[10:11], s[12:13], 3
	s_waitcnt lgkmcnt(0)
	s_add_u32 s0, s0, s10
	s_addc_u32 s1, s1, s11
	v_lshlrev_b32_e32 v1, 3, v0
	v_mov_b32_e32 v2, s1
	v_add_co_u32_e32 v12, vcc, s0, v1
	v_addc_co_u32_e32 v13, vcc, 0, v2, vcc
	global_load_dwordx2 v[4:5], v1, s[0:1]
	global_load_dwordx2 v[2:3], v1, s[0:1] offset:2048
	s_movk_i32 s0, 0x1000
	v_add_co_u32_e32 v18, vcc, s0, v12
	v_addc_co_u32_e32 v19, vcc, 0, v13, vcc
	s_movk_i32 s0, 0x2000
	v_add_co_u32_e32 v10, vcc, s0, v12
	v_addc_co_u32_e32 v11, vcc, 0, v13, vcc
	s_movk_i32 s0, 0x3000
	v_add_co_u32_e32 v20, vcc, s0, v12
	global_load_dwordx2 v[14:15], v[10:11], off offset:-4096
	global_load_dwordx2 v[8:9], v[10:11], off
	global_load_dwordx2 v[6:7], v[10:11], off offset:2048
	v_addc_co_u32_e32 v21, vcc, 0, v13, vcc
	global_load_dwordx2 v[16:17], v[18:19], off offset:2048
	global_load_dwordx2 v[12:13], v[20:21], off
	global_load_dwordx2 v[10:11], v[20:21], off offset:2048
	s_load_dword s4, s[4:5], 0x18
	s_mov_b32 s7, s13
	s_lshl_b64 s[0:1], s[6:7], 2
	s_add_u32 s0, s2, s0
	s_addc_u32 s1, s3, s1
	s_waitcnt lgkmcnt(0)
	v_cvt_f32_u32_e32 v18, s4
	s_load_dword s2, s[0:1], 0x0
	s_sub_i32 s0, 0, s4
	v_or_b32_e32 v20, 1, v1
	v_rcp_iflag_f32_e32 v18, v18
	v_or_b32_e32 v21, 2, v1
	v_or_b32_e32 v22, 3, v1
	;; [unrolled: 1-line block ×3, first 2 shown]
	v_mul_f32_e32 v18, 0x4f7ffffe, v18
	v_cvt_u32_f32_e32 v18, v18
	v_or_b32_e32 v24, 5, v1
	v_or_b32_e32 v25, 6, v1
	;; [unrolled: 1-line block ×3, first 2 shown]
	v_readfirstlane_b32 s1, v18
	s_mul_i32 s0, s0, s1
	s_mul_hi_u32 s0, s1, s0
	s_add_i32 s1, s1, s0
	s_lshr_b32 s0, s1, 21
	s_mul_i32 s1, s0, s4
	s_sub_i32 s1, 0x800, s1
	s_add_i32 s3, s0, 1
	s_sub_i32 s5, s1, s4
	s_cmp_ge_u32 s1, s4
	s_cselect_b32 s0, s3, s0
	s_cselect_b32 s1, s5, s1
	s_add_i32 s3, s0, 1
	s_cmp_ge_u32 s1, s4
	s_cselect_b32 s3, s3, s0
	s_add_i32 s3, s3, 1
	v_add_u32_e32 v27, 8, v1
	v_or_b32_e32 v28, 0x800, v1
	s_max_u32 s4, s4, 1
	s_branch .LBB201_2
.LBB201_1:                              ;   in Loop: Header=BB201_2 Depth=1
	s_or_b64 exec, exec, s[0:1]
	v_cmp_gt_u32_e32 vcc, s2, v20
	v_cndmask_b32_e32 v30, 0, v2, vcc
	v_cndmask_b32_e32 v29, 0, v3, vcc
	v_sub_co_u32_e32 v30, vcc, v4, v30
	v_subb_co_u32_e32 v29, vcc, v5, v29, vcc
	v_cmp_gt_u32_e32 vcc, s2, v21
	v_cndmask_b32_e32 v32, 0, v14, vcc
	v_cndmask_b32_e32 v31, 0, v15, vcc
	v_sub_co_u32_e32 v32, vcc, v2, v32
	v_subb_co_u32_e32 v31, vcc, v3, v31, vcc
	;; [unrolled: 5-line block ×7, first 2 shown]
	v_add_co_u32_e32 v4, vcc, v30, v4
	v_addc_co_u32_e32 v5, vcc, v29, v5, vcc
	v_add_co_u32_e32 v2, vcc, v32, v2
	v_addc_co_u32_e32 v3, vcc, v31, v3, vcc
	;; [unrolled: 2-line block ×7, first 2 shown]
	s_add_i32 s0, s3, s2
	v_add_co_u32_e32 v10, vcc, v18, v10
	s_and_b32 s2, s0, 0x7ff
	s_add_i32 s4, s4, -1
	v_addc_co_u32_e32 v11, vcc, v19, v11, vcc
	s_cmp_lg_u32 s4, 0
	s_barrier
	s_cbranch_scc0 .LBB201_4
.LBB201_2:                              ; =>This Inner Loop Header: Depth=1
	s_waitcnt lgkmcnt(0)
	v_cmp_gt_u32_e32 vcc, s2, v27
	s_waitcnt vmcnt(0)
	v_pk_mov_b32 v[18:19], v[10:11], v[10:11] op_sel:[0,1]
	ds_write_b64 v1, v[4:5] offset:2048
	s_waitcnt lgkmcnt(0)
	s_barrier
	s_and_saveexec_b64 s[0:1], vcc
	s_cbranch_execz .LBB201_1
; %bb.3:                                ;   in Loop: Header=BB201_2 Depth=1
	ds_read_b64 v[18:19], v28 offset:8
	s_waitcnt lgkmcnt(0)
	v_sub_co_u32_e32 v18, vcc, v10, v18
	v_subb_co_u32_e32 v19, vcc, v11, v19, vcc
	s_branch .LBB201_1
.LBB201_4:
	s_add_u32 s0, s8, s10
	s_addc_u32 s1, s9, s11
	v_lshlrev_b32_e32 v0, 3, v0
	v_mov_b32_e32 v1, s1
	v_add_co_u32_e32 v18, vcc, s0, v0
	v_addc_co_u32_e32 v19, vcc, 0, v1, vcc
	global_store_dwordx2 v0, v[4:5], s[0:1]
	global_store_dwordx2 v0, v[2:3], s[0:1] offset:2048
	v_add_co_u32_e32 v0, vcc, 0x1000, v18
	v_addc_co_u32_e32 v1, vcc, 0, v19, vcc
	global_store_dwordx2 v[0:1], v[14:15], off
	global_store_dwordx2 v[0:1], v[16:17], off offset:2048
	v_add_co_u32_e32 v0, vcc, 0x2000, v18
	v_addc_co_u32_e32 v1, vcc, 0, v19, vcc
	global_store_dwordx2 v[0:1], v[8:9], off
	global_store_dwordx2 v[0:1], v[6:7], off offset:2048
	;; [unrolled: 4-line block ×3, first 2 shown]
	s_endpgm
	.section	.rodata,"a",@progbits
	.p2align	6, 0x0
	.amdhsa_kernel _Z6kernelI27subtract_right_partial_tileLj256ELj8ELb0EJPxPiS1_jEEvDpT3_
		.amdhsa_group_segment_fixed_size 4096
		.amdhsa_private_segment_fixed_size 0
		.amdhsa_kernarg_size 28
		.amdhsa_user_sgpr_count 6
		.amdhsa_user_sgpr_private_segment_buffer 1
		.amdhsa_user_sgpr_dispatch_ptr 0
		.amdhsa_user_sgpr_queue_ptr 0
		.amdhsa_user_sgpr_kernarg_segment_ptr 1
		.amdhsa_user_sgpr_dispatch_id 0
		.amdhsa_user_sgpr_flat_scratch_init 0
		.amdhsa_user_sgpr_kernarg_preload_length 0
		.amdhsa_user_sgpr_kernarg_preload_offset 0
		.amdhsa_user_sgpr_private_segment_size 0
		.amdhsa_uses_dynamic_stack 0
		.amdhsa_system_sgpr_private_segment_wavefront_offset 0
		.amdhsa_system_sgpr_workgroup_id_x 1
		.amdhsa_system_sgpr_workgroup_id_y 0
		.amdhsa_system_sgpr_workgroup_id_z 0
		.amdhsa_system_sgpr_workgroup_info 0
		.amdhsa_system_vgpr_workitem_id 0
		.amdhsa_next_free_vgpr 43
		.amdhsa_next_free_sgpr 14
		.amdhsa_accum_offset 44
		.amdhsa_reserve_vcc 1
		.amdhsa_reserve_flat_scratch 0
		.amdhsa_float_round_mode_32 0
		.amdhsa_float_round_mode_16_64 0
		.amdhsa_float_denorm_mode_32 3
		.amdhsa_float_denorm_mode_16_64 3
		.amdhsa_dx10_clamp 1
		.amdhsa_ieee_mode 1
		.amdhsa_fp16_overflow 0
		.amdhsa_tg_split 0
		.amdhsa_exception_fp_ieee_invalid_op 0
		.amdhsa_exception_fp_denorm_src 0
		.amdhsa_exception_fp_ieee_div_zero 0
		.amdhsa_exception_fp_ieee_overflow 0
		.amdhsa_exception_fp_ieee_underflow 0
		.amdhsa_exception_fp_ieee_inexact 0
		.amdhsa_exception_int_div_zero 0
	.end_amdhsa_kernel
	.section	.text._Z6kernelI27subtract_right_partial_tileLj256ELj8ELb0EJPxPiS1_jEEvDpT3_,"axG",@progbits,_Z6kernelI27subtract_right_partial_tileLj256ELj8ELb0EJPxPiS1_jEEvDpT3_,comdat
.Lfunc_end201:
	.size	_Z6kernelI27subtract_right_partial_tileLj256ELj8ELb0EJPxPiS1_jEEvDpT3_, .Lfunc_end201-_Z6kernelI27subtract_right_partial_tileLj256ELj8ELb0EJPxPiS1_jEEvDpT3_
                                        ; -- End function
	.section	.AMDGPU.csdata,"",@progbits
; Kernel info:
; codeLenInByte = 764
; NumSgprs: 18
; NumVgprs: 43
; NumAgprs: 0
; TotalNumVgprs: 43
; ScratchSize: 0
; MemoryBound: 0
; FloatMode: 240
; IeeeMode: 1
; LDSByteSize: 4096 bytes/workgroup (compile time only)
; SGPRBlocks: 2
; VGPRBlocks: 5
; NumSGPRsForWavesPerEU: 18
; NumVGPRsForWavesPerEU: 43
; AccumOffset: 44
; Occupancy: 8
; WaveLimiterHint : 1
; COMPUTE_PGM_RSRC2:SCRATCH_EN: 0
; COMPUTE_PGM_RSRC2:USER_SGPR: 6
; COMPUTE_PGM_RSRC2:TRAP_HANDLER: 0
; COMPUTE_PGM_RSRC2:TGID_X_EN: 1
; COMPUTE_PGM_RSRC2:TGID_Y_EN: 0
; COMPUTE_PGM_RSRC2:TGID_Z_EN: 0
; COMPUTE_PGM_RSRC2:TIDIG_COMP_CNT: 0
; COMPUTE_PGM_RSRC3_GFX90A:ACCUM_OFFSET: 10
; COMPUTE_PGM_RSRC3_GFX90A:TG_SPLIT: 0
	.section	.text._Z6kernelI27subtract_right_partial_tileLj256ELj16ELb0EJPxPiS1_jEEvDpT3_,"axG",@progbits,_Z6kernelI27subtract_right_partial_tileLj256ELj16ELb0EJPxPiS1_jEEvDpT3_,comdat
	.protected	_Z6kernelI27subtract_right_partial_tileLj256ELj16ELb0EJPxPiS1_jEEvDpT3_ ; -- Begin function _Z6kernelI27subtract_right_partial_tileLj256ELj16ELb0EJPxPiS1_jEEvDpT3_
	.globl	_Z6kernelI27subtract_right_partial_tileLj256ELj16ELb0EJPxPiS1_jEEvDpT3_
	.p2align	8
	.type	_Z6kernelI27subtract_right_partial_tileLj256ELj16ELb0EJPxPiS1_jEEvDpT3_,@function
_Z6kernelI27subtract_right_partial_tileLj256ELj16ELb0EJPxPiS1_jEEvDpT3_: ; @_Z6kernelI27subtract_right_partial_tileLj256ELj16ELb0EJPxPiS1_jEEvDpT3_
; %bb.0:
	s_load_dwordx4 s[0:3], s[4:5], 0x0
	s_load_dwordx2 s[8:9], s[4:5], 0x10
	s_lshl_b32 s12, s6, 12
	s_mov_b32 s13, 0
	s_lshl_b64 s[10:11], s[12:13], 3
	s_waitcnt lgkmcnt(0)
	s_add_u32 s0, s0, s10
	s_addc_u32 s1, s1, s11
	v_lshlrev_b32_e32 v1, 3, v0
	v_mov_b32_e32 v2, s1
	v_add_co_u32_e32 v28, vcc, s0, v1
	v_addc_co_u32_e32 v29, vcc, 0, v2, vcc
	global_load_dwordx2 v[4:5], v1, s[0:1]
	global_load_dwordx2 v[2:3], v1, s[0:1] offset:2048
	s_movk_i32 s0, 0x1000
	v_add_co_u32_e32 v34, vcc, s0, v28
	v_addc_co_u32_e32 v35, vcc, 0, v29, vcc
	s_movk_i32 s0, 0x2000
	v_add_co_u32_e32 v6, vcc, s0, v28
	v_addc_co_u32_e32 v7, vcc, 0, v29, vcc
	;; [unrolled: 3-line block ×6, first 2 shown]
	s_movk_i32 s0, 0x7000
	v_add_co_u32_e32 v40, vcc, s0, v28
	global_load_dwordx2 v[26:27], v[6:7], off offset:-4096
	global_load_dwordx2 v[20:21], v[6:7], off
	global_load_dwordx2 v[18:19], v[6:7], off offset:2048
	global_load_dwordx2 v[10:11], v[12:13], off offset:-4096
	global_load_dwordx2 v[24:25], v[12:13], off
	global_load_dwordx2 v[22:23], v[12:13], off offset:2048
	;; [unrolled: 3-line block ×3, first 2 shown]
	v_addc_co_u32_e32 v41, vcc, 0, v29, vcc
	global_load_dwordx2 v[32:33], v[34:35], off offset:2048
	global_load_dwordx2 v[30:31], v[36:37], off offset:2048
	;; [unrolled: 1-line block ×3, first 2 shown]
	global_load_dwordx2 v[14:15], v[40:41], off
	global_load_dwordx2 v[12:13], v[40:41], off offset:2048
	s_load_dword s4, s[4:5], 0x18
	s_mov_b32 s7, s13
	s_lshl_b64 s[0:1], s[6:7], 2
	s_add_u32 s0, s2, s0
	s_addc_u32 s1, s3, s1
	s_waitcnt lgkmcnt(0)
	v_cvt_f32_u32_e32 v34, s4
	s_load_dword s2, s[0:1], 0x0
	s_sub_i32 s0, 0, s4
	v_or_b32_e32 v52, 0x800, v1
	v_rcp_iflag_f32_e32 v34, v34
	v_mul_f32_e32 v34, 0x4f7ffffe, v34
	v_cvt_u32_f32_e32 v34, v34
	v_readfirstlane_b32 s1, v34
	s_mul_i32 s0, s0, s1
	s_mul_hi_u32 s0, s1, s0
	s_add_i32 s1, s1, s0
	s_lshr_b32 s0, s1, 20
	s_mul_i32 s1, s0, s4
	s_sub_i32 s1, 0x1000, s1
	s_add_i32 s3, s0, 1
	s_sub_i32 s5, s1, s4
	s_cmp_ge_u32 s1, s4
	s_cselect_b32 s0, s3, s0
	s_cselect_b32 s1, s5, s1
	s_add_i32 s3, s0, 1
	s_cmp_ge_u32 s1, s4
	s_cselect_b32 s3, s3, s0
	v_lshlrev_b32_e32 v34, 4, v0
	s_add_i32 s3, s3, 1
	v_or_b32_e32 v36, 1, v34
	v_or_b32_e32 v37, 2, v34
	;; [unrolled: 1-line block ×15, first 2 shown]
	v_add_u32_e32 v51, 16, v34
	s_max_u32 s4, s4, 1
	s_branch .LBB202_2
.LBB202_1:                              ;   in Loop: Header=BB202_2 Depth=1
	s_or_b64 exec, exec, s[0:1]
	v_cmp_gt_u32_e32 vcc, s2, v36
	v_cndmask_b32_e32 v54, 0, v2, vcc
	v_cndmask_b32_e32 v53, 0, v3, vcc
	v_sub_co_u32_e32 v54, vcc, v4, v54
	v_subb_co_u32_e32 v53, vcc, v5, v53, vcc
	v_cmp_gt_u32_e32 vcc, s2, v37
	v_cndmask_b32_e32 v56, 0, v26, vcc
	v_cndmask_b32_e32 v55, 0, v27, vcc
	v_sub_co_u32_e32 v56, vcc, v2, v56
	v_subb_co_u32_e32 v55, vcc, v3, v55, vcc
	v_cmp_gt_u32_e32 vcc, s2, v38
	v_add_co_u32_e64 v4, s[0:1], v54, v4
	v_addc_co_u32_e64 v5, s[0:1], v53, v5, s[0:1]
	v_cndmask_b32_e32 v53, 0, v32, vcc
	v_cndmask_b32_e32 v54, 0, v33, vcc
	v_sub_co_u32_e32 v53, vcc, v26, v53
	v_subb_co_u32_e32 v54, vcc, v27, v54, vcc
	v_cmp_gt_u32_e32 vcc, s2, v39
	v_add_co_u32_e64 v2, s[0:1], v56, v2
	v_addc_co_u32_e64 v3, s[0:1], v55, v3, s[0:1]
	v_cndmask_b32_e32 v55, 0, v20, vcc
	v_cndmask_b32_e32 v56, 0, v21, vcc
	v_sub_co_u32_e32 v55, vcc, v32, v55
	v_subb_co_u32_e32 v56, vcc, v33, v56, vcc
	v_cmp_gt_u32_e32 vcc, s2, v40
	v_add_co_u32_e64 v26, s[0:1], v53, v26
	v_addc_co_u32_e64 v27, s[0:1], v54, v27, s[0:1]
	v_cndmask_b32_e32 v54, 0, v18, vcc
	v_cndmask_b32_e32 v53, 0, v19, vcc
	v_sub_co_u32_e32 v54, vcc, v20, v54
	v_subb_co_u32_e32 v53, vcc, v21, v53, vcc
	v_cmp_gt_u32_e32 vcc, s2, v41
	v_add_co_u32_e64 v32, s[0:1], v55, v32
	v_addc_co_u32_e64 v33, s[0:1], v56, v33, s[0:1]
	v_cndmask_b32_e32 v56, 0, v10, vcc
	v_cndmask_b32_e32 v55, 0, v11, vcc
	v_sub_co_u32_e32 v56, vcc, v18, v56
	v_subb_co_u32_e32 v55, vcc, v19, v55, vcc
	v_cmp_gt_u32_e32 vcc, s2, v42
	v_add_co_u32_e64 v20, s[0:1], v54, v20
	v_addc_co_u32_e64 v21, s[0:1], v53, v21, s[0:1]
	v_cndmask_b32_e32 v53, 0, v30, vcc
	v_cndmask_b32_e32 v54, 0, v31, vcc
	v_sub_co_u32_e32 v53, vcc, v10, v53
	v_subb_co_u32_e32 v54, vcc, v11, v54, vcc
	v_cmp_gt_u32_e32 vcc, s2, v43
	v_add_co_u32_e64 v18, s[0:1], v56, v18
	v_addc_co_u32_e64 v19, s[0:1], v55, v19, s[0:1]
	v_cndmask_b32_e32 v55, 0, v24, vcc
	v_cndmask_b32_e32 v56, 0, v25, vcc
	v_sub_co_u32_e32 v55, vcc, v30, v55
	v_subb_co_u32_e32 v56, vcc, v31, v56, vcc
	v_cmp_gt_u32_e32 vcc, s2, v44
	v_add_co_u32_e64 v10, s[0:1], v53, v10
	v_addc_co_u32_e64 v11, s[0:1], v54, v11, s[0:1]
	v_cndmask_b32_e32 v54, 0, v22, vcc
	v_cndmask_b32_e32 v53, 0, v23, vcc
	v_sub_co_u32_e32 v54, vcc, v24, v54
	v_subb_co_u32_e32 v53, vcc, v25, v53, vcc
	v_cmp_gt_u32_e32 vcc, s2, v45
	v_add_co_u32_e64 v30, s[0:1], v55, v30
	v_addc_co_u32_e64 v31, s[0:1], v56, v31, s[0:1]
	v_cndmask_b32_e32 v56, 0, v16, vcc
	v_cndmask_b32_e32 v55, 0, v17, vcc
	v_sub_co_u32_e32 v56, vcc, v22, v56
	v_subb_co_u32_e32 v55, vcc, v23, v55, vcc
	v_cmp_gt_u32_e32 vcc, s2, v46
	v_add_co_u32_e64 v24, s[0:1], v54, v24
	v_addc_co_u32_e64 v25, s[0:1], v53, v25, s[0:1]
	v_cndmask_b32_e32 v53, 0, v28, vcc
	v_cndmask_b32_e32 v54, 0, v29, vcc
	v_sub_co_u32_e32 v53, vcc, v16, v53
	v_subb_co_u32_e32 v54, vcc, v17, v54, vcc
	v_cmp_gt_u32_e32 vcc, s2, v47
	v_add_co_u32_e64 v22, s[0:1], v56, v22
	v_addc_co_u32_e64 v23, s[0:1], v55, v23, s[0:1]
	v_cndmask_b32_e32 v55, 0, v8, vcc
	v_cndmask_b32_e32 v56, 0, v9, vcc
	v_sub_co_u32_e32 v55, vcc, v28, v55
	v_subb_co_u32_e32 v56, vcc, v29, v56, vcc
	v_cmp_gt_u32_e32 vcc, s2, v48
	v_add_co_u32_e64 v16, s[0:1], v53, v16
	v_addc_co_u32_e64 v17, s[0:1], v54, v17, s[0:1]
	v_cndmask_b32_e32 v54, 0, v6, vcc
	v_cndmask_b32_e32 v53, 0, v7, vcc
	v_sub_co_u32_e32 v54, vcc, v8, v54
	v_subb_co_u32_e32 v53, vcc, v9, v53, vcc
	v_cmp_gt_u32_e32 vcc, s2, v49
	v_add_co_u32_e64 v28, s[0:1], v55, v28
	v_addc_co_u32_e64 v29, s[0:1], v56, v29, s[0:1]
	v_cndmask_b32_e32 v56, 0, v14, vcc
	v_cndmask_b32_e32 v55, 0, v15, vcc
	v_sub_co_u32_e32 v56, vcc, v6, v56
	v_subb_co_u32_e32 v55, vcc, v7, v55, vcc
	v_cmp_gt_u32_e32 vcc, s2, v50
	v_add_co_u32_e64 v8, s[0:1], v54, v8
	v_addc_co_u32_e64 v9, s[0:1], v53, v9, s[0:1]
	v_cndmask_b32_e32 v53, 0, v12, vcc
	v_cndmask_b32_e32 v54, 0, v13, vcc
	v_sub_co_u32_e32 v53, vcc, v14, v53
	v_subb_co_u32_e32 v54, vcc, v15, v54, vcc
	v_add_co_u32_e32 v6, vcc, v56, v6
	v_addc_co_u32_e32 v7, vcc, v55, v7, vcc
	v_add_co_u32_e32 v14, vcc, v53, v14
	v_addc_co_u32_e32 v15, vcc, v54, v15, vcc
	s_add_i32 s0, s3, s2
	v_add_co_u32_e32 v12, vcc, v34, v12
	s_and_b32 s2, s0, 0xfff
	s_add_i32 s4, s4, -1
	v_addc_co_u32_e32 v13, vcc, v35, v13, vcc
	s_cmp_lg_u32 s4, 0
	s_barrier
	s_cbranch_scc0 .LBB202_4
.LBB202_2:                              ; =>This Inner Loop Header: Depth=1
	s_waitcnt lgkmcnt(0)
	v_cmp_gt_u32_e32 vcc, s2, v51
	s_waitcnt vmcnt(0)
	v_pk_mov_b32 v[34:35], v[12:13], v[12:13] op_sel:[0,1]
	ds_write_b64 v1, v[4:5] offset:2048
	s_waitcnt lgkmcnt(0)
	s_barrier
	s_and_saveexec_b64 s[0:1], vcc
	s_cbranch_execz .LBB202_1
; %bb.3:                                ;   in Loop: Header=BB202_2 Depth=1
	ds_read_b64 v[34:35], v52 offset:8
	s_waitcnt lgkmcnt(0)
	v_sub_co_u32_e32 v34, vcc, v12, v34
	v_subb_co_u32_e32 v35, vcc, v13, v35, vcc
	s_branch .LBB202_1
.LBB202_4:
	s_add_u32 s0, s8, s10
	s_addc_u32 s1, s9, s11
	v_lshlrev_b32_e32 v0, 3, v0
	v_mov_b32_e32 v1, s1
	v_add_co_u32_e32 v34, vcc, s0, v0
	v_addc_co_u32_e32 v35, vcc, 0, v1, vcc
	global_store_dwordx2 v0, v[4:5], s[0:1]
	global_store_dwordx2 v0, v[2:3], s[0:1] offset:2048
	v_add_co_u32_e32 v0, vcc, 0x1000, v34
	v_addc_co_u32_e32 v1, vcc, 0, v35, vcc
	global_store_dwordx2 v[0:1], v[26:27], off
	global_store_dwordx2 v[0:1], v[32:33], off offset:2048
	v_add_co_u32_e32 v0, vcc, 0x2000, v34
	v_addc_co_u32_e32 v1, vcc, 0, v35, vcc
	global_store_dwordx2 v[0:1], v[20:21], off
	global_store_dwordx2 v[0:1], v[18:19], off offset:2048
	v_add_co_u32_e32 v0, vcc, 0x3000, v34
	v_addc_co_u32_e32 v1, vcc, 0, v35, vcc
	global_store_dwordx2 v[0:1], v[10:11], off
	global_store_dwordx2 v[0:1], v[30:31], off offset:2048
	v_add_co_u32_e32 v0, vcc, 0x4000, v34
	v_addc_co_u32_e32 v1, vcc, 0, v35, vcc
	global_store_dwordx2 v[0:1], v[24:25], off
	global_store_dwordx2 v[0:1], v[22:23], off offset:2048
	v_add_co_u32_e32 v0, vcc, 0x5000, v34
	v_addc_co_u32_e32 v1, vcc, 0, v35, vcc
	global_store_dwordx2 v[0:1], v[16:17], off
	global_store_dwordx2 v[0:1], v[28:29], off offset:2048
	v_add_co_u32_e32 v0, vcc, 0x6000, v34
	v_addc_co_u32_e32 v1, vcc, 0, v35, vcc
	global_store_dwordx2 v[0:1], v[8:9], off
	global_store_dwordx2 v[0:1], v[6:7], off offset:2048
	v_add_co_u32_e32 v0, vcc, 0x7000, v34
	v_addc_co_u32_e32 v1, vcc, 0, v35, vcc
	global_store_dwordx2 v[0:1], v[14:15], off
	global_store_dwordx2 v[0:1], v[12:13], off offset:2048
	s_endpgm
	.section	.rodata,"a",@progbits
	.p2align	6, 0x0
	.amdhsa_kernel _Z6kernelI27subtract_right_partial_tileLj256ELj16ELb0EJPxPiS1_jEEvDpT3_
		.amdhsa_group_segment_fixed_size 4096
		.amdhsa_private_segment_fixed_size 0
		.amdhsa_kernarg_size 28
		.amdhsa_user_sgpr_count 6
		.amdhsa_user_sgpr_private_segment_buffer 1
		.amdhsa_user_sgpr_dispatch_ptr 0
		.amdhsa_user_sgpr_queue_ptr 0
		.amdhsa_user_sgpr_kernarg_segment_ptr 1
		.amdhsa_user_sgpr_dispatch_id 0
		.amdhsa_user_sgpr_flat_scratch_init 0
		.amdhsa_user_sgpr_kernarg_preload_length 0
		.amdhsa_user_sgpr_kernarg_preload_offset 0
		.amdhsa_user_sgpr_private_segment_size 0
		.amdhsa_uses_dynamic_stack 0
		.amdhsa_system_sgpr_private_segment_wavefront_offset 0
		.amdhsa_system_sgpr_workgroup_id_x 1
		.amdhsa_system_sgpr_workgroup_id_y 0
		.amdhsa_system_sgpr_workgroup_id_z 0
		.amdhsa_system_sgpr_workgroup_info 0
		.amdhsa_system_vgpr_workitem_id 0
		.amdhsa_next_free_vgpr 57
		.amdhsa_next_free_sgpr 14
		.amdhsa_accum_offset 60
		.amdhsa_reserve_vcc 1
		.amdhsa_reserve_flat_scratch 0
		.amdhsa_float_round_mode_32 0
		.amdhsa_float_round_mode_16_64 0
		.amdhsa_float_denorm_mode_32 3
		.amdhsa_float_denorm_mode_16_64 3
		.amdhsa_dx10_clamp 1
		.amdhsa_ieee_mode 1
		.amdhsa_fp16_overflow 0
		.amdhsa_tg_split 0
		.amdhsa_exception_fp_ieee_invalid_op 0
		.amdhsa_exception_fp_denorm_src 0
		.amdhsa_exception_fp_ieee_div_zero 0
		.amdhsa_exception_fp_ieee_overflow 0
		.amdhsa_exception_fp_ieee_underflow 0
		.amdhsa_exception_fp_ieee_inexact 0
		.amdhsa_exception_int_div_zero 0
	.end_amdhsa_kernel
	.section	.text._Z6kernelI27subtract_right_partial_tileLj256ELj16ELb0EJPxPiS1_jEEvDpT3_,"axG",@progbits,_Z6kernelI27subtract_right_partial_tileLj256ELj16ELb0EJPxPiS1_jEEvDpT3_,comdat
.Lfunc_end202:
	.size	_Z6kernelI27subtract_right_partial_tileLj256ELj16ELb0EJPxPiS1_jEEvDpT3_, .Lfunc_end202-_Z6kernelI27subtract_right_partial_tileLj256ELj16ELb0EJPxPiS1_jEEvDpT3_
                                        ; -- End function
	.section	.AMDGPU.csdata,"",@progbits
; Kernel info:
; codeLenInByte = 1352
; NumSgprs: 18
; NumVgprs: 57
; NumAgprs: 0
; TotalNumVgprs: 57
; ScratchSize: 0
; MemoryBound: 0
; FloatMode: 240
; IeeeMode: 1
; LDSByteSize: 4096 bytes/workgroup (compile time only)
; SGPRBlocks: 2
; VGPRBlocks: 7
; NumSGPRsForWavesPerEU: 18
; NumVGPRsForWavesPerEU: 57
; AccumOffset: 60
; Occupancy: 8
; WaveLimiterHint : 1
; COMPUTE_PGM_RSRC2:SCRATCH_EN: 0
; COMPUTE_PGM_RSRC2:USER_SGPR: 6
; COMPUTE_PGM_RSRC2:TRAP_HANDLER: 0
; COMPUTE_PGM_RSRC2:TGID_X_EN: 1
; COMPUTE_PGM_RSRC2:TGID_Y_EN: 0
; COMPUTE_PGM_RSRC2:TGID_Z_EN: 0
; COMPUTE_PGM_RSRC2:TIDIG_COMP_CNT: 0
; COMPUTE_PGM_RSRC3_GFX90A:ACCUM_OFFSET: 14
; COMPUTE_PGM_RSRC3_GFX90A:TG_SPLIT: 0
	.section	.text._Z6kernelI27subtract_right_partial_tileLj256ELj32ELb0EJPxPiS1_jEEvDpT3_,"axG",@progbits,_Z6kernelI27subtract_right_partial_tileLj256ELj32ELb0EJPxPiS1_jEEvDpT3_,comdat
	.protected	_Z6kernelI27subtract_right_partial_tileLj256ELj32ELb0EJPxPiS1_jEEvDpT3_ ; -- Begin function _Z6kernelI27subtract_right_partial_tileLj256ELj32ELb0EJPxPiS1_jEEvDpT3_
	.globl	_Z6kernelI27subtract_right_partial_tileLj256ELj32ELb0EJPxPiS1_jEEvDpT3_
	.p2align	8
	.type	_Z6kernelI27subtract_right_partial_tileLj256ELj32ELb0EJPxPiS1_jEEvDpT3_,@function
_Z6kernelI27subtract_right_partial_tileLj256ELj32ELb0EJPxPiS1_jEEvDpT3_: ; @_Z6kernelI27subtract_right_partial_tileLj256ELj32ELb0EJPxPiS1_jEEvDpT3_
; %bb.0:
	s_load_dwordx4 s[0:3], s[4:5], 0x0
	s_load_dwordx2 s[8:9], s[4:5], 0x10
	s_lshl_b32 s12, s6, 13
	s_mov_b32 s13, 0
	s_lshl_b64 s[10:11], s[12:13], 3
	s_waitcnt lgkmcnt(0)
	s_add_u32 s0, s0, s10
	s_addc_u32 s1, s1, s11
	v_lshlrev_b32_e32 v1, 3, v0
	v_mov_b32_e32 v2, s1
	v_add_co_u32_e32 v46, vcc, s0, v1
	v_addc_co_u32_e32 v47, vcc, 0, v2, vcc
	s_movk_i32 s7, 0x1000
	v_add_co_u32_e32 v30, vcc, s7, v46
	v_addc_co_u32_e32 v31, vcc, 0, v47, vcc
	s_movk_i32 s7, 0x2000
	;; [unrolled: 3-line block ×7, first 2 shown]
	v_add_co_u32_e32 v42, vcc, s7, v46
	v_addc_co_u32_e32 v43, vcc, 0, v47, vcc
	s_mov_b32 s7, 0x8000
	v_add_co_u32_e32 v44, vcc, s7, v46
	v_addc_co_u32_e32 v45, vcc, 0, v47, vcc
	s_mov_b32 s7, 0x9000
	v_add_co_u32_e32 v66, vcc, s7, v46
	v_addc_co_u32_e32 v67, vcc, 0, v47, vcc
	s_mov_b32 s7, 0xa000
	global_load_dwordx2 v[22:23], v[2:3], off offset:-4096
	global_load_dwordx2 v[10:11], v[2:3], off
	global_load_dwordx2 v[8:9], v[2:3], off offset:2048
	global_load_dwordx2 v[4:5], v[12:13], off offset:-4096
	global_load_dwordx2 v[18:19], v[12:13], off
	global_load_dwordx2 v[16:17], v[12:13], off offset:2048
	global_load_dwordx2 v[6:7], v[36:37], off offset:-4096
	s_nop 0
	global_load_dwordx2 v[2:3], v[36:37], off
	global_load_dwordx2 v[40:41], v[30:31], off offset:2048
	global_load_dwordx2 v[38:39], v[32:33], off offset:2048
	;; [unrolled: 1-line block ×5, first 2 shown]
	global_load_dwordx2 v[24:25], v[44:45], off offset:-4096
	global_load_dwordx2 v[14:15], v[44:45], off
	global_load_dwordx2 v[12:13], v[44:45], off offset:2048
	v_add_co_u32_e32 v42, vcc, s7, v46
	v_addc_co_u32_e32 v43, vcc, 0, v47, vcc
	s_mov_b32 s7, 0xb000
	v_add_co_u32_e32 v68, vcc, s7, v46
	v_addc_co_u32_e32 v69, vcc, 0, v47, vcc
	s_mov_b32 s7, 0xc000
	;; [unrolled: 3-line block ×5, first 2 shown]
	v_add_co_u32_e32 v76, vcc, s7, v46
	global_load_dwordx2 v[36:37], v[42:43], off offset:-4096
	global_load_dwordx2 v[34:35], v[42:43], off
	global_load_dwordx2 v[32:33], v[42:43], off offset:2048
	global_load_dwordx2 v[30:31], v[70:71], off offset:-4096
	v_addc_co_u32_e32 v77, vcc, 0, v47, vcc
	global_load_dwordx2 v[56:57], v[70:71], off
	global_load_dwordx2 v[54:55], v[70:71], off offset:2048
	global_load_dwordx2 v[50:51], v[74:75], off offset:-4096
	global_load_dwordx2 v[48:49], v[74:75], off
	global_load_dwordx2 v[46:47], v[74:75], off offset:2048
	global_load_dwordx2 v[60:61], v[66:67], off offset:2048
	;; [unrolled: 1-line block ×4, first 2 shown]
	global_load_dwordx2 v[44:45], v[76:77], off
	global_load_dwordx2 v[42:43], v[76:77], off offset:2048
	global_load_dwordx2 v[64:65], v1, s[0:1]
	global_load_dwordx2 v[62:63], v1, s[0:1] offset:2048
	s_load_dword s4, s[4:5], 0x18
	s_mov_b32 s7, s13
	s_lshl_b64 s[0:1], s[6:7], 2
	s_add_u32 s0, s2, s0
	s_addc_u32 s1, s3, s1
	s_waitcnt lgkmcnt(0)
	v_cvt_f32_u32_e32 v66, s4
	s_load_dword s2, s[0:1], 0x0
	s_sub_i32 s0, 0, s4
	v_or_b32_e32 v100, 0x800, v1
	v_rcp_iflag_f32_e32 v66, v66
	v_mul_f32_e32 v66, 0x4f7ffffe, v66
	v_cvt_u32_f32_e32 v66, v66
	v_readfirstlane_b32 s5, v66
	s_mul_i32 s0, s0, s5
	s_mul_hi_u32 s0, s5, s0
	s_add_i32 s5, s5, s0
	s_lshr_b32 s0, s5, 19
	s_mul_i32 s1, s0, s4
	s_sub_i32 s1, 0x2000, s1
	s_add_i32 s3, s0, 1
	s_sub_i32 s5, s1, s4
	s_cmp_ge_u32 s1, s4
	s_cselect_b32 s0, s3, s0
	s_cselect_b32 s1, s5, s1
	s_add_i32 s3, s0, 1
	s_cmp_ge_u32 s1, s4
	s_cselect_b32 s3, s3, s0
	v_lshlrev_b32_e32 v66, 5, v0
	s_add_i32 s3, s3, 1
	v_or_b32_e32 v68, 1, v66
	v_or_b32_e32 v69, 2, v66
	;; [unrolled: 1-line block ×31, first 2 shown]
	v_add_u32_e32 v99, 32, v66
	s_max_u32 s4, s4, 1
	s_branch .LBB203_2
.LBB203_1:                              ;   in Loop: Header=BB203_2 Depth=1
	s_or_b64 exec, exec, s[0:1]
	v_cmp_gt_u32_e32 vcc, s2, v68
	s_waitcnt vmcnt(0)
	v_cndmask_b32_e32 v102, 0, v62, vcc
	v_cndmask_b32_e32 v101, 0, v63, vcc
	v_sub_co_u32_e32 v102, vcc, v64, v102
	v_subb_co_u32_e32 v101, vcc, v65, v101, vcc
	v_cmp_gt_u32_e32 vcc, s2, v69
	v_cndmask_b32_e32 v104, 0, v22, vcc
	v_cndmask_b32_e32 v103, 0, v23, vcc
	v_sub_co_u32_e32 v104, vcc, v62, v104
	v_subb_co_u32_e32 v103, vcc, v63, v103, vcc
	v_cmp_gt_u32_e32 vcc, s2, v70
	;; [unrolled: 5-line block ×10, first 2 shown]
	v_add_co_u32_e64 v64, s[0:1], v102, v64
	v_addc_co_u32_e64 v65, s[0:1], v101, v65, s[0:1]
	v_cndmask_b32_e32 v101, 0, v28, vcc
	v_cndmask_b32_e32 v121, 0, v29, vcc
	v_sub_co_u32_e32 v101, vcc, v6, v101
	v_subb_co_u32_e32 v102, vcc, v7, v121, vcc
	v_cmp_gt_u32_e32 vcc, s2, v79
	v_add_co_u32_e64 v62, s[0:1], v104, v62
	v_addc_co_u32_e64 v63, s[0:1], v103, v63, s[0:1]
	v_cndmask_b32_e32 v103, 0, v2, vcc
	v_cndmask_b32_e32 v121, 0, v3, vcc
	v_sub_co_u32_e32 v103, vcc, v28, v103
	v_subb_co_u32_e32 v104, vcc, v29, v121, vcc
	v_cmp_gt_u32_e32 vcc, s2, v80
	;; [unrolled: 7-line block ×10, first 2 shown]
	v_add_co_u32_e64 v6, s[0:1], v101, v6
	v_cndmask_b32_e32 v101, 0, v32, vcc
	v_cndmask_b32_e32 v121, 0, v33, vcc
	v_sub_co_u32_e32 v101, vcc, v34, v101
	v_addc_co_u32_e64 v7, s[0:1], v102, v7, s[0:1]
	v_subb_co_u32_e32 v102, vcc, v35, v121, vcc
	v_cmp_gt_u32_e32 vcc, s2, v89
	v_add_co_u32_e64 v28, s[0:1], v103, v28
	v_cndmask_b32_e32 v103, 0, v30, vcc
	v_cndmask_b32_e32 v121, 0, v31, vcc
	v_sub_co_u32_e32 v103, vcc, v32, v103
	v_addc_co_u32_e64 v29, s[0:1], v104, v29, s[0:1]
	v_subb_co_u32_e32 v104, vcc, v33, v121, vcc
	v_cmp_gt_u32_e32 vcc, s2, v90
	;; [unrolled: 7-line block ×10, first 2 shown]
	v_add_co_u32_e64 v34, s[0:1], v101, v34
	v_cndmask_b32_e32 v101, 0, v42, vcc
	v_cndmask_b32_e32 v121, 0, v43, vcc
	v_sub_co_u32_e32 v101, vcc, v44, v101
	v_addc_co_u32_e64 v35, s[0:1], v102, v35, s[0:1]
	v_subb_co_u32_e32 v102, vcc, v45, v121, vcc
	v_add_co_u32_e32 v32, vcc, v103, v32
	v_addc_co_u32_e32 v33, vcc, v104, v33, vcc
	v_add_co_u32_e32 v30, vcc, v105, v30
	v_addc_co_u32_e32 v31, vcc, v106, v31, vcc
	;; [unrolled: 2-line block ×10, first 2 shown]
	s_add_i32 s0, s3, s2
	v_add_co_u32_e32 v42, vcc, v66, v42
	s_and_b32 s2, s0, 0x1fff
	s_add_i32 s4, s4, -1
	v_addc_co_u32_e32 v43, vcc, v67, v43, vcc
	s_cmp_lg_u32 s4, 0
	s_barrier
	s_cbranch_scc0 .LBB203_4
.LBB203_2:                              ; =>This Inner Loop Header: Depth=1
	s_waitcnt lgkmcnt(0)
	v_cmp_gt_u32_e32 vcc, s2, v99
	s_waitcnt vmcnt(2)
	v_pk_mov_b32 v[66:67], v[42:43], v[42:43] op_sel:[0,1]
	s_waitcnt vmcnt(1)
	ds_write_b64 v1, v[64:65] offset:2048
	s_waitcnt lgkmcnt(0)
	s_barrier
	s_and_saveexec_b64 s[0:1], vcc
	s_cbranch_execz .LBB203_1
; %bb.3:                                ;   in Loop: Header=BB203_2 Depth=1
	ds_read_b64 v[66:67], v100 offset:8
	s_waitcnt lgkmcnt(0)
	v_sub_co_u32_e32 v66, vcc, v42, v66
	v_subb_co_u32_e32 v67, vcc, v43, v67, vcc
	s_branch .LBB203_1
.LBB203_4:
	s_add_u32 s0, s8, s10
	s_addc_u32 s1, s9, s11
	v_lshlrev_b32_e32 v0, 3, v0
	v_mov_b32_e32 v1, s1
	v_add_co_u32_e32 v66, vcc, s0, v0
	v_addc_co_u32_e32 v67, vcc, 0, v1, vcc
	global_store_dwordx2 v0, v[64:65], s[0:1]
	global_store_dwordx2 v0, v[62:63], s[0:1] offset:2048
	v_add_co_u32_e32 v0, vcc, 0x1000, v66
	v_addc_co_u32_e32 v1, vcc, 0, v67, vcc
	global_store_dwordx2 v[0:1], v[22:23], off
	global_store_dwordx2 v[0:1], v[40:41], off offset:2048
	v_add_co_u32_e32 v0, vcc, 0x2000, v66
	v_addc_co_u32_e32 v1, vcc, 0, v67, vcc
	global_store_dwordx2 v[0:1], v[10:11], off
	global_store_dwordx2 v[0:1], v[8:9], off offset:2048
	;; [unrolled: 4-line block ×15, first 2 shown]
	s_endpgm
	.section	.rodata,"a",@progbits
	.p2align	6, 0x0
	.amdhsa_kernel _Z6kernelI27subtract_right_partial_tileLj256ELj32ELb0EJPxPiS1_jEEvDpT3_
		.amdhsa_group_segment_fixed_size 4096
		.amdhsa_private_segment_fixed_size 0
		.amdhsa_kernarg_size 28
		.amdhsa_user_sgpr_count 6
		.amdhsa_user_sgpr_private_segment_buffer 1
		.amdhsa_user_sgpr_dispatch_ptr 0
		.amdhsa_user_sgpr_queue_ptr 0
		.amdhsa_user_sgpr_kernarg_segment_ptr 1
		.amdhsa_user_sgpr_dispatch_id 0
		.amdhsa_user_sgpr_flat_scratch_init 0
		.amdhsa_user_sgpr_kernarg_preload_length 0
		.amdhsa_user_sgpr_kernarg_preload_offset 0
		.amdhsa_user_sgpr_private_segment_size 0
		.amdhsa_uses_dynamic_stack 0
		.amdhsa_system_sgpr_private_segment_wavefront_offset 0
		.amdhsa_system_sgpr_workgroup_id_x 1
		.amdhsa_system_sgpr_workgroup_id_y 0
		.amdhsa_system_sgpr_workgroup_id_z 0
		.amdhsa_system_sgpr_workgroup_info 0
		.amdhsa_system_vgpr_workitem_id 0
		.amdhsa_next_free_vgpr 122
		.amdhsa_next_free_sgpr 14
		.amdhsa_accum_offset 124
		.amdhsa_reserve_vcc 1
		.amdhsa_reserve_flat_scratch 0
		.amdhsa_float_round_mode_32 0
		.amdhsa_float_round_mode_16_64 0
		.amdhsa_float_denorm_mode_32 3
		.amdhsa_float_denorm_mode_16_64 3
		.amdhsa_dx10_clamp 1
		.amdhsa_ieee_mode 1
		.amdhsa_fp16_overflow 0
		.amdhsa_tg_split 0
		.amdhsa_exception_fp_ieee_invalid_op 0
		.amdhsa_exception_fp_denorm_src 0
		.amdhsa_exception_fp_ieee_div_zero 0
		.amdhsa_exception_fp_ieee_overflow 0
		.amdhsa_exception_fp_ieee_underflow 0
		.amdhsa_exception_fp_ieee_inexact 0
		.amdhsa_exception_int_div_zero 0
	.end_amdhsa_kernel
	.section	.text._Z6kernelI27subtract_right_partial_tileLj256ELj32ELb0EJPxPiS1_jEEvDpT3_,"axG",@progbits,_Z6kernelI27subtract_right_partial_tileLj256ELj32ELb0EJPxPiS1_jEEvDpT3_,comdat
.Lfunc_end203:
	.size	_Z6kernelI27subtract_right_partial_tileLj256ELj32ELb0EJPxPiS1_jEEvDpT3_, .Lfunc_end203-_Z6kernelI27subtract_right_partial_tileLj256ELj32ELb0EJPxPiS1_jEEvDpT3_
                                        ; -- End function
	.section	.AMDGPU.csdata,"",@progbits
; Kernel info:
; codeLenInByte = 2420
; NumSgprs: 18
; NumVgprs: 122
; NumAgprs: 0
; TotalNumVgprs: 122
; ScratchSize: 0
; MemoryBound: 0
; FloatMode: 240
; IeeeMode: 1
; LDSByteSize: 4096 bytes/workgroup (compile time only)
; SGPRBlocks: 2
; VGPRBlocks: 15
; NumSGPRsForWavesPerEU: 18
; NumVGPRsForWavesPerEU: 122
; AccumOffset: 124
; Occupancy: 4
; WaveLimiterHint : 1
; COMPUTE_PGM_RSRC2:SCRATCH_EN: 0
; COMPUTE_PGM_RSRC2:USER_SGPR: 6
; COMPUTE_PGM_RSRC2:TRAP_HANDLER: 0
; COMPUTE_PGM_RSRC2:TGID_X_EN: 1
; COMPUTE_PGM_RSRC2:TGID_Y_EN: 0
; COMPUTE_PGM_RSRC2:TGID_Z_EN: 0
; COMPUTE_PGM_RSRC2:TIDIG_COMP_CNT: 0
; COMPUTE_PGM_RSRC3_GFX90A:ACCUM_OFFSET: 30
; COMPUTE_PGM_RSRC3_GFX90A:TG_SPLIT: 0
	.section	.text._Z6kernelI27subtract_right_partial_tileLj256ELj1ELb0EJPdPiS1_jEEvDpT3_,"axG",@progbits,_Z6kernelI27subtract_right_partial_tileLj256ELj1ELb0EJPdPiS1_jEEvDpT3_,comdat
	.protected	_Z6kernelI27subtract_right_partial_tileLj256ELj1ELb0EJPdPiS1_jEEvDpT3_ ; -- Begin function _Z6kernelI27subtract_right_partial_tileLj256ELj1ELb0EJPdPiS1_jEEvDpT3_
	.globl	_Z6kernelI27subtract_right_partial_tileLj256ELj1ELb0EJPdPiS1_jEEvDpT3_
	.p2align	8
	.type	_Z6kernelI27subtract_right_partial_tileLj256ELj1ELb0EJPdPiS1_jEEvDpT3_,@function
_Z6kernelI27subtract_right_partial_tileLj256ELj1ELb0EJPdPiS1_jEEvDpT3_: ; @_Z6kernelI27subtract_right_partial_tileLj256ELj1ELb0EJPdPiS1_jEEvDpT3_
; %bb.0:
	s_load_dwordx4 s[8:11], s[4:5], 0x0
	s_load_dwordx2 s[0:1], s[4:5], 0x10
	s_lshl_b32 s12, s6, 8
	s_mov_b32 s13, 0
	s_lshl_b64 s[2:3], s[12:13], 3
	s_waitcnt lgkmcnt(0)
	s_add_u32 s8, s8, s2
	s_addc_u32 s9, s9, s3
	v_lshlrev_b32_e32 v1, 3, v0
	global_load_dwordx2 v[2:3], v1, s[8:9]
	s_load_dword s8, s[4:5], 0x18
	s_mov_b32 s7, s13
	s_lshl_b64 s[4:5], s[6:7], 2
	s_add_u32 s4, s10, s4
	s_addc_u32 s5, s11, s5
	s_waitcnt lgkmcnt(0)
	v_cvt_f32_u32_e32 v4, s8
	s_load_dword s6, s[4:5], 0x0
	s_sub_i32 s4, 0, s8
	v_add_u32_e32 v6, 1, v0
	v_rcp_iflag_f32_e32 v4, v4
	v_or_b32_e32 v7, 0x800, v1
	v_mul_f32_e32 v4, 0x4f7ffffe, v4
	v_cvt_u32_f32_e32 v4, v4
	v_readfirstlane_b32 s5, v4
	s_mul_i32 s4, s4, s5
	s_mul_hi_u32 s4, s5, s4
	s_add_i32 s5, s5, s4
	s_lshr_b32 s4, s5, 24
	s_mul_i32 s5, s4, s8
	s_sub_i32 s5, 0x100, s5
	s_add_i32 s7, s4, 1
	s_sub_i32 s9, s5, s8
	s_cmp_ge_u32 s5, s8
	s_cselect_b32 s4, s7, s4
	s_cselect_b32 s5, s9, s5
	s_add_i32 s7, s4, 1
	s_cmp_ge_u32 s5, s8
	s_cselect_b32 s7, s7, s4
	s_add_i32 s7, s7, 1
	s_max_u32 s8, s8, 1
	s_branch .LBB204_2
.LBB204_1:                              ;   in Loop: Header=BB204_2 Depth=1
	s_or_b64 exec, exec, s[4:5]
	s_add_i32 s4, s7, s6
	s_and_b32 s6, s4, 0xff
	s_add_i32 s8, s8, -1
	v_add_f64 v[2:3], v[2:3], v[4:5]
	s_cmp_lg_u32 s8, 0
	s_barrier
	s_cbranch_scc0 .LBB204_4
.LBB204_2:                              ; =>This Inner Loop Header: Depth=1
	s_waitcnt lgkmcnt(0)
	v_cmp_gt_u32_e32 vcc, s6, v6
	s_waitcnt vmcnt(0)
	v_pk_mov_b32 v[4:5], v[2:3], v[2:3] op_sel:[0,1]
	ds_write_b64 v1, v[2:3] offset:2048
	s_waitcnt lgkmcnt(0)
	s_barrier
	s_and_saveexec_b64 s[4:5], vcc
	s_cbranch_execz .LBB204_1
; %bb.3:                                ;   in Loop: Header=BB204_2 Depth=1
	ds_read_b64 v[4:5], v7 offset:8
	s_waitcnt lgkmcnt(0)
	v_add_f64 v[4:5], v[2:3], -v[4:5]
	s_branch .LBB204_1
.LBB204_4:
	s_add_u32 s0, s0, s2
	s_addc_u32 s1, s1, s3
	v_lshlrev_b32_e32 v0, 3, v0
	global_store_dwordx2 v0, v[2:3], s[0:1]
	s_endpgm
	.section	.rodata,"a",@progbits
	.p2align	6, 0x0
	.amdhsa_kernel _Z6kernelI27subtract_right_partial_tileLj256ELj1ELb0EJPdPiS1_jEEvDpT3_
		.amdhsa_group_segment_fixed_size 4096
		.amdhsa_private_segment_fixed_size 0
		.amdhsa_kernarg_size 28
		.amdhsa_user_sgpr_count 6
		.amdhsa_user_sgpr_private_segment_buffer 1
		.amdhsa_user_sgpr_dispatch_ptr 0
		.amdhsa_user_sgpr_queue_ptr 0
		.amdhsa_user_sgpr_kernarg_segment_ptr 1
		.amdhsa_user_sgpr_dispatch_id 0
		.amdhsa_user_sgpr_flat_scratch_init 0
		.amdhsa_user_sgpr_kernarg_preload_length 0
		.amdhsa_user_sgpr_kernarg_preload_offset 0
		.amdhsa_user_sgpr_private_segment_size 0
		.amdhsa_uses_dynamic_stack 0
		.amdhsa_system_sgpr_private_segment_wavefront_offset 0
		.amdhsa_system_sgpr_workgroup_id_x 1
		.amdhsa_system_sgpr_workgroup_id_y 0
		.amdhsa_system_sgpr_workgroup_id_z 0
		.amdhsa_system_sgpr_workgroup_info 0
		.amdhsa_system_vgpr_workitem_id 0
		.amdhsa_next_free_vgpr 8
		.amdhsa_next_free_sgpr 14
		.amdhsa_accum_offset 8
		.amdhsa_reserve_vcc 1
		.amdhsa_reserve_flat_scratch 0
		.amdhsa_float_round_mode_32 0
		.amdhsa_float_round_mode_16_64 0
		.amdhsa_float_denorm_mode_32 3
		.amdhsa_float_denorm_mode_16_64 3
		.amdhsa_dx10_clamp 1
		.amdhsa_ieee_mode 1
		.amdhsa_fp16_overflow 0
		.amdhsa_tg_split 0
		.amdhsa_exception_fp_ieee_invalid_op 0
		.amdhsa_exception_fp_denorm_src 0
		.amdhsa_exception_fp_ieee_div_zero 0
		.amdhsa_exception_fp_ieee_overflow 0
		.amdhsa_exception_fp_ieee_underflow 0
		.amdhsa_exception_fp_ieee_inexact 0
		.amdhsa_exception_int_div_zero 0
	.end_amdhsa_kernel
	.section	.text._Z6kernelI27subtract_right_partial_tileLj256ELj1ELb0EJPdPiS1_jEEvDpT3_,"axG",@progbits,_Z6kernelI27subtract_right_partial_tileLj256ELj1ELb0EJPdPiS1_jEEvDpT3_,comdat
.Lfunc_end204:
	.size	_Z6kernelI27subtract_right_partial_tileLj256ELj1ELb0EJPdPiS1_jEEvDpT3_, .Lfunc_end204-_Z6kernelI27subtract_right_partial_tileLj256ELj1ELb0EJPdPiS1_jEEvDpT3_
                                        ; -- End function
	.section	.AMDGPU.csdata,"",@progbits
; Kernel info:
; codeLenInByte = 332
; NumSgprs: 18
; NumVgprs: 8
; NumAgprs: 0
; TotalNumVgprs: 8
; ScratchSize: 0
; MemoryBound: 0
; FloatMode: 240
; IeeeMode: 1
; LDSByteSize: 4096 bytes/workgroup (compile time only)
; SGPRBlocks: 2
; VGPRBlocks: 0
; NumSGPRsForWavesPerEU: 18
; NumVGPRsForWavesPerEU: 8
; AccumOffset: 8
; Occupancy: 8
; WaveLimiterHint : 0
; COMPUTE_PGM_RSRC2:SCRATCH_EN: 0
; COMPUTE_PGM_RSRC2:USER_SGPR: 6
; COMPUTE_PGM_RSRC2:TRAP_HANDLER: 0
; COMPUTE_PGM_RSRC2:TGID_X_EN: 1
; COMPUTE_PGM_RSRC2:TGID_Y_EN: 0
; COMPUTE_PGM_RSRC2:TGID_Z_EN: 0
; COMPUTE_PGM_RSRC2:TIDIG_COMP_CNT: 0
; COMPUTE_PGM_RSRC3_GFX90A:ACCUM_OFFSET: 1
; COMPUTE_PGM_RSRC3_GFX90A:TG_SPLIT: 0
	.section	.text._Z6kernelI27subtract_right_partial_tileLj256ELj3ELb0EJPdPiS1_jEEvDpT3_,"axG",@progbits,_Z6kernelI27subtract_right_partial_tileLj256ELj3ELb0EJPdPiS1_jEEvDpT3_,comdat
	.protected	_Z6kernelI27subtract_right_partial_tileLj256ELj3ELb0EJPdPiS1_jEEvDpT3_ ; -- Begin function _Z6kernelI27subtract_right_partial_tileLj256ELj3ELb0EJPdPiS1_jEEvDpT3_
	.globl	_Z6kernelI27subtract_right_partial_tileLj256ELj3ELb0EJPdPiS1_jEEvDpT3_
	.p2align	8
	.type	_Z6kernelI27subtract_right_partial_tileLj256ELj3ELb0EJPdPiS1_jEEvDpT3_,@function
_Z6kernelI27subtract_right_partial_tileLj256ELj3ELb0EJPdPiS1_jEEvDpT3_: ; @_Z6kernelI27subtract_right_partial_tileLj256ELj3ELb0EJPdPiS1_jEEvDpT3_
; %bb.0:
	s_load_dwordx4 s[0:3], s[4:5], 0x0
	s_load_dwordx2 s[8:9], s[4:5], 0x10
	s_mul_i32 s12, s6, 0x300
	s_mov_b32 s13, 0
	s_lshl_b64 s[10:11], s[12:13], 3
	s_waitcnt lgkmcnt(0)
	s_add_u32 s0, s0, s10
	s_addc_u32 s1, s1, s11
	v_lshlrev_b32_e32 v1, 3, v0
	v_mov_b32_e32 v2, s1
	v_add_co_u32_e32 v6, vcc, s0, v1
	v_addc_co_u32_e32 v7, vcc, 0, v2, vcc
	global_load_dwordx2 v[2:3], v1, s[0:1]
	global_load_dwordx2 v[4:5], v1, s[0:1] offset:2048
	s_movk_i32 s0, 0x1000
	v_add_co_u32_e32 v6, vcc, s0, v6
	v_addc_co_u32_e32 v7, vcc, 0, v7, vcc
	global_load_dwordx2 v[6:7], v[6:7], off
	s_load_dword s4, s[4:5], 0x18
	s_mov_b32 s7, s13
	s_lshl_b64 s[0:1], s[6:7], 2
	s_add_u32 s0, s2, s0
	s_addc_u32 s1, s3, s1
	s_waitcnt lgkmcnt(0)
	v_cvt_f32_u32_e32 v8, s4
	s_load_dword s2, s[0:1], 0x0
	s_sub_i32 s0, 0, s4
	v_mad_u32_u24 v10, v0, 3, 1
	v_rcp_iflag_f32_e32 v8, v8
	v_mad_u32_u24 v11, v0, 3, 2
	v_mad_u32_u24 v12, v0, 3, 3
	v_or_b32_e32 v13, 0x800, v1
	v_mul_f32_e32 v8, 0x4f7ffffe, v8
	v_cvt_u32_f32_e32 v8, v8
	v_readfirstlane_b32 s1, v8
	s_mul_i32 s0, s0, s1
	s_mul_hi_u32 s0, s1, s0
	s_add_i32 s1, s1, s0
	s_mul_hi_u32 s0, s1, 0x300
	s_mul_i32 s1, s0, s4
	s_sub_i32 s1, 0x300, s1
	s_add_i32 s3, s0, 1
	s_sub_i32 s5, s1, s4
	s_cmp_ge_u32 s1, s4
	s_cselect_b32 s0, s3, s0
	s_cselect_b32 s1, s5, s1
	s_add_i32 s3, s0, 1
	s_cmp_ge_u32 s1, s4
	s_cselect_b32 s3, s3, s0
	s_add_i32 s3, s3, 1
	s_max_u32 s4, s4, 1
	s_branch .LBB205_2
.LBB205_1:                              ;   in Loop: Header=BB205_2 Depth=1
	s_or_b64 exec, exec, s[0:1]
	s_add_i32 s0, s3, s2
	s_mul_hi_u32 s1, s0, 0xaaaaaaab
	v_add_f64 v[14:15], v[2:3], -v[4:5]
	v_cmp_gt_u32_e32 vcc, s2, v10
	s_lshr_b32 s1, s1, 9
	v_cndmask_b32_e32 v15, v3, v15, vcc
	v_cndmask_b32_e32 v14, v2, v14, vcc
	v_add_f64 v[16:17], v[4:5], -v[6:7]
	v_cmp_gt_u32_e32 vcc, s2, v11
	s_mulk_i32 s1, 0x300
	v_cndmask_b32_e32 v17, v5, v17, vcc
	v_cndmask_b32_e32 v16, v4, v16, vcc
	s_sub_i32 s2, s0, s1
	s_add_i32 s4, s4, -1
	v_add_f64 v[2:3], v[2:3], v[14:15]
	v_add_f64 v[4:5], v[4:5], v[16:17]
	;; [unrolled: 1-line block ×3, first 2 shown]
	s_cmp_lg_u32 s4, 0
	s_barrier
	s_cbranch_scc0 .LBB205_4
.LBB205_2:                              ; =>This Inner Loop Header: Depth=1
	s_waitcnt lgkmcnt(0)
	v_cmp_gt_u32_e32 vcc, s2, v12
	s_waitcnt vmcnt(0)
	v_pk_mov_b32 v[8:9], v[6:7], v[6:7] op_sel:[0,1]
	ds_write_b64 v1, v[2:3] offset:2048
	s_waitcnt lgkmcnt(0)
	s_barrier
	s_and_saveexec_b64 s[0:1], vcc
	s_cbranch_execz .LBB205_1
; %bb.3:                                ;   in Loop: Header=BB205_2 Depth=1
	ds_read_b64 v[8:9], v13 offset:8
	s_waitcnt lgkmcnt(0)
	v_add_f64 v[8:9], v[6:7], -v[8:9]
	s_branch .LBB205_1
.LBB205_4:
	s_add_u32 s0, s8, s10
	s_addc_u32 s1, s9, s11
	v_lshlrev_b32_e32 v0, 3, v0
	v_mov_b32_e32 v1, s1
	v_add_co_u32_e32 v8, vcc, s0, v0
	v_addc_co_u32_e32 v1, vcc, 0, v1, vcc
	global_store_dwordx2 v0, v[2:3], s[0:1]
	global_store_dwordx2 v0, v[4:5], s[0:1] offset:2048
	v_add_co_u32_e32 v0, vcc, 0x1000, v8
	v_addc_co_u32_e32 v1, vcc, 0, v1, vcc
	global_store_dwordx2 v[0:1], v[6:7], off
	s_endpgm
	.section	.rodata,"a",@progbits
	.p2align	6, 0x0
	.amdhsa_kernel _Z6kernelI27subtract_right_partial_tileLj256ELj3ELb0EJPdPiS1_jEEvDpT3_
		.amdhsa_group_segment_fixed_size 4096
		.amdhsa_private_segment_fixed_size 0
		.amdhsa_kernarg_size 28
		.amdhsa_user_sgpr_count 6
		.amdhsa_user_sgpr_private_segment_buffer 1
		.amdhsa_user_sgpr_dispatch_ptr 0
		.amdhsa_user_sgpr_queue_ptr 0
		.amdhsa_user_sgpr_kernarg_segment_ptr 1
		.amdhsa_user_sgpr_dispatch_id 0
		.amdhsa_user_sgpr_flat_scratch_init 0
		.amdhsa_user_sgpr_kernarg_preload_length 0
		.amdhsa_user_sgpr_kernarg_preload_offset 0
		.amdhsa_user_sgpr_private_segment_size 0
		.amdhsa_uses_dynamic_stack 0
		.amdhsa_system_sgpr_private_segment_wavefront_offset 0
		.amdhsa_system_sgpr_workgroup_id_x 1
		.amdhsa_system_sgpr_workgroup_id_y 0
		.amdhsa_system_sgpr_workgroup_id_z 0
		.amdhsa_system_sgpr_workgroup_info 0
		.amdhsa_system_vgpr_workitem_id 0
		.amdhsa_next_free_vgpr 18
		.amdhsa_next_free_sgpr 14
		.amdhsa_accum_offset 20
		.amdhsa_reserve_vcc 1
		.amdhsa_reserve_flat_scratch 0
		.amdhsa_float_round_mode_32 0
		.amdhsa_float_round_mode_16_64 0
		.amdhsa_float_denorm_mode_32 3
		.amdhsa_float_denorm_mode_16_64 3
		.amdhsa_dx10_clamp 1
		.amdhsa_ieee_mode 1
		.amdhsa_fp16_overflow 0
		.amdhsa_tg_split 0
		.amdhsa_exception_fp_ieee_invalid_op 0
		.amdhsa_exception_fp_denorm_src 0
		.amdhsa_exception_fp_ieee_div_zero 0
		.amdhsa_exception_fp_ieee_overflow 0
		.amdhsa_exception_fp_ieee_underflow 0
		.amdhsa_exception_fp_ieee_inexact 0
		.amdhsa_exception_int_div_zero 0
	.end_amdhsa_kernel
	.section	.text._Z6kernelI27subtract_right_partial_tileLj256ELj3ELb0EJPdPiS1_jEEvDpT3_,"axG",@progbits,_Z6kernelI27subtract_right_partial_tileLj256ELj3ELb0EJPdPiS1_jEEvDpT3_,comdat
.Lfunc_end205:
	.size	_Z6kernelI27subtract_right_partial_tileLj256ELj3ELb0EJPdPiS1_jEEvDpT3_, .Lfunc_end205-_Z6kernelI27subtract_right_partial_tileLj256ELj3ELb0EJPdPiS1_jEEvDpT3_
                                        ; -- End function
	.section	.AMDGPU.csdata,"",@progbits
; Kernel info:
; codeLenInByte = 508
; NumSgprs: 18
; NumVgprs: 18
; NumAgprs: 0
; TotalNumVgprs: 18
; ScratchSize: 0
; MemoryBound: 0
; FloatMode: 240
; IeeeMode: 1
; LDSByteSize: 4096 bytes/workgroup (compile time only)
; SGPRBlocks: 2
; VGPRBlocks: 2
; NumSGPRsForWavesPerEU: 18
; NumVGPRsForWavesPerEU: 18
; AccumOffset: 20
; Occupancy: 8
; WaveLimiterHint : 1
; COMPUTE_PGM_RSRC2:SCRATCH_EN: 0
; COMPUTE_PGM_RSRC2:USER_SGPR: 6
; COMPUTE_PGM_RSRC2:TRAP_HANDLER: 0
; COMPUTE_PGM_RSRC2:TGID_X_EN: 1
; COMPUTE_PGM_RSRC2:TGID_Y_EN: 0
; COMPUTE_PGM_RSRC2:TGID_Z_EN: 0
; COMPUTE_PGM_RSRC2:TIDIG_COMP_CNT: 0
; COMPUTE_PGM_RSRC3_GFX90A:ACCUM_OFFSET: 4
; COMPUTE_PGM_RSRC3_GFX90A:TG_SPLIT: 0
	.section	.text._Z6kernelI27subtract_right_partial_tileLj256ELj4ELb0EJPdPiS1_jEEvDpT3_,"axG",@progbits,_Z6kernelI27subtract_right_partial_tileLj256ELj4ELb0EJPdPiS1_jEEvDpT3_,comdat
	.protected	_Z6kernelI27subtract_right_partial_tileLj256ELj4ELb0EJPdPiS1_jEEvDpT3_ ; -- Begin function _Z6kernelI27subtract_right_partial_tileLj256ELj4ELb0EJPdPiS1_jEEvDpT3_
	.globl	_Z6kernelI27subtract_right_partial_tileLj256ELj4ELb0EJPdPiS1_jEEvDpT3_
	.p2align	8
	.type	_Z6kernelI27subtract_right_partial_tileLj256ELj4ELb0EJPdPiS1_jEEvDpT3_,@function
_Z6kernelI27subtract_right_partial_tileLj256ELj4ELb0EJPdPiS1_jEEvDpT3_: ; @_Z6kernelI27subtract_right_partial_tileLj256ELj4ELb0EJPdPiS1_jEEvDpT3_
; %bb.0:
	s_load_dwordx4 s[0:3], s[4:5], 0x0
	s_load_dwordx2 s[8:9], s[4:5], 0x10
	s_lshl_b32 s12, s6, 10
	s_mov_b32 s13, 0
	s_lshl_b64 s[10:11], s[12:13], 3
	s_waitcnt lgkmcnt(0)
	s_add_u32 s0, s0, s10
	s_addc_u32 s1, s1, s11
	v_lshlrev_b32_e32 v1, 3, v0
	v_mov_b32_e32 v2, s1
	v_add_co_u32_e32 v6, vcc, s0, v1
	v_addc_co_u32_e32 v7, vcc, 0, v2, vcc
	global_load_dwordx2 v[2:3], v1, s[0:1]
	global_load_dwordx2 v[4:5], v1, s[0:1] offset:2048
	s_movk_i32 s0, 0x1000
	v_add_co_u32_e32 v10, vcc, s0, v6
	v_addc_co_u32_e32 v11, vcc, 0, v7, vcc
	global_load_dwordx2 v[6:7], v[10:11], off
	global_load_dwordx2 v[8:9], v[10:11], off offset:2048
	s_load_dword s4, s[4:5], 0x18
	s_mov_b32 s7, s13
	s_lshl_b64 s[0:1], s[6:7], 2
	s_add_u32 s0, s2, s0
	s_addc_u32 s1, s3, s1
	s_waitcnt lgkmcnt(0)
	v_cvt_f32_u32_e32 v10, s4
	s_load_dword s2, s[0:1], 0x0
	s_sub_i32 s0, 0, s4
	v_or_b32_e32 v16, 0x800, v1
	v_rcp_iflag_f32_e32 v10, v10
	v_mul_f32_e32 v10, 0x4f7ffffe, v10
	v_cvt_u32_f32_e32 v10, v10
	v_readfirstlane_b32 s1, v10
	s_mul_i32 s0, s0, s1
	s_mul_hi_u32 s0, s1, s0
	s_add_i32 s1, s1, s0
	s_lshr_b32 s0, s1, 22
	s_mul_i32 s1, s0, s4
	s_sub_i32 s1, 0x400, s1
	s_add_i32 s3, s0, 1
	s_sub_i32 s5, s1, s4
	s_cmp_ge_u32 s1, s4
	s_cselect_b32 s0, s3, s0
	s_cselect_b32 s1, s5, s1
	s_add_i32 s3, s0, 1
	s_cmp_ge_u32 s1, s4
	s_cselect_b32 s3, s3, s0
	v_lshlrev_b32_e32 v10, 2, v0
	s_add_i32 s3, s3, 1
	v_or_b32_e32 v12, 1, v10
	v_or_b32_e32 v13, 2, v10
	;; [unrolled: 1-line block ×3, first 2 shown]
	v_add_u32_e32 v15, 4, v10
	s_max_u32 s4, s4, 1
	s_branch .LBB206_2
.LBB206_1:                              ;   in Loop: Header=BB206_2 Depth=1
	s_or_b64 exec, exec, s[0:1]
	v_add_f64 v[18:19], v[2:3], -v[4:5]
	v_cmp_gt_u32_e32 vcc, s2, v12
	v_cndmask_b32_e32 v19, v3, v19, vcc
	v_cndmask_b32_e32 v18, v2, v18, vcc
	v_add_f64 v[20:21], v[4:5], -v[6:7]
	v_cmp_gt_u32_e32 vcc, s2, v13
	v_cndmask_b32_e32 v21, v5, v21, vcc
	v_cndmask_b32_e32 v20, v4, v20, vcc
	v_add_f64 v[22:23], v[6:7], -v[8:9]
	v_cmp_gt_u32_e32 vcc, s2, v14
	s_add_i32 s0, s3, s2
	v_cndmask_b32_e32 v23, v7, v23, vcc
	v_cndmask_b32_e32 v22, v6, v22, vcc
	s_and_b32 s2, s0, 0x3ff
	s_add_i32 s4, s4, -1
	v_add_f64 v[2:3], v[2:3], v[18:19]
	v_add_f64 v[4:5], v[4:5], v[20:21]
	;; [unrolled: 1-line block ×4, first 2 shown]
	s_cmp_lg_u32 s4, 0
	s_barrier
	s_cbranch_scc0 .LBB206_4
.LBB206_2:                              ; =>This Inner Loop Header: Depth=1
	s_waitcnt lgkmcnt(0)
	v_cmp_gt_u32_e32 vcc, s2, v15
	s_waitcnt vmcnt(0)
	v_pk_mov_b32 v[10:11], v[8:9], v[8:9] op_sel:[0,1]
	ds_write_b64 v1, v[2:3] offset:2048
	s_waitcnt lgkmcnt(0)
	s_barrier
	s_and_saveexec_b64 s[0:1], vcc
	s_cbranch_execz .LBB206_1
; %bb.3:                                ;   in Loop: Header=BB206_2 Depth=1
	ds_read_b64 v[10:11], v16 offset:8
	s_waitcnt lgkmcnt(0)
	v_add_f64 v[10:11], v[8:9], -v[10:11]
	s_branch .LBB206_1
.LBB206_4:
	s_add_u32 s0, s8, s10
	s_addc_u32 s1, s9, s11
	v_lshlrev_b32_e32 v0, 3, v0
	v_mov_b32_e32 v1, s1
	v_add_co_u32_e32 v10, vcc, s0, v0
	v_addc_co_u32_e32 v1, vcc, 0, v1, vcc
	global_store_dwordx2 v0, v[2:3], s[0:1]
	global_store_dwordx2 v0, v[4:5], s[0:1] offset:2048
	v_add_co_u32_e32 v0, vcc, 0x1000, v10
	v_addc_co_u32_e32 v1, vcc, 0, v1, vcc
	global_store_dwordx2 v[0:1], v[6:7], off
	global_store_dwordx2 v[0:1], v[8:9], off offset:2048
	s_endpgm
	.section	.rodata,"a",@progbits
	.p2align	6, 0x0
	.amdhsa_kernel _Z6kernelI27subtract_right_partial_tileLj256ELj4ELb0EJPdPiS1_jEEvDpT3_
		.amdhsa_group_segment_fixed_size 4096
		.amdhsa_private_segment_fixed_size 0
		.amdhsa_kernarg_size 28
		.amdhsa_user_sgpr_count 6
		.amdhsa_user_sgpr_private_segment_buffer 1
		.amdhsa_user_sgpr_dispatch_ptr 0
		.amdhsa_user_sgpr_queue_ptr 0
		.amdhsa_user_sgpr_kernarg_segment_ptr 1
		.amdhsa_user_sgpr_dispatch_id 0
		.amdhsa_user_sgpr_flat_scratch_init 0
		.amdhsa_user_sgpr_kernarg_preload_length 0
		.amdhsa_user_sgpr_kernarg_preload_offset 0
		.amdhsa_user_sgpr_private_segment_size 0
		.amdhsa_uses_dynamic_stack 0
		.amdhsa_system_sgpr_private_segment_wavefront_offset 0
		.amdhsa_system_sgpr_workgroup_id_x 1
		.amdhsa_system_sgpr_workgroup_id_y 0
		.amdhsa_system_sgpr_workgroup_id_z 0
		.amdhsa_system_sgpr_workgroup_info 0
		.amdhsa_system_vgpr_workitem_id 0
		.amdhsa_next_free_vgpr 24
		.amdhsa_next_free_sgpr 14
		.amdhsa_accum_offset 24
		.amdhsa_reserve_vcc 1
		.amdhsa_reserve_flat_scratch 0
		.amdhsa_float_round_mode_32 0
		.amdhsa_float_round_mode_16_64 0
		.amdhsa_float_denorm_mode_32 3
		.amdhsa_float_denorm_mode_16_64 3
		.amdhsa_dx10_clamp 1
		.amdhsa_ieee_mode 1
		.amdhsa_fp16_overflow 0
		.amdhsa_tg_split 0
		.amdhsa_exception_fp_ieee_invalid_op 0
		.amdhsa_exception_fp_denorm_src 0
		.amdhsa_exception_fp_ieee_div_zero 0
		.amdhsa_exception_fp_ieee_overflow 0
		.amdhsa_exception_fp_ieee_underflow 0
		.amdhsa_exception_fp_ieee_inexact 0
		.amdhsa_exception_int_div_zero 0
	.end_amdhsa_kernel
	.section	.text._Z6kernelI27subtract_right_partial_tileLj256ELj4ELb0EJPdPiS1_jEEvDpT3_,"axG",@progbits,_Z6kernelI27subtract_right_partial_tileLj256ELj4ELb0EJPdPiS1_jEEvDpT3_,comdat
.Lfunc_end206:
	.size	_Z6kernelI27subtract_right_partial_tileLj256ELj4ELb0EJPdPiS1_jEEvDpT3_, .Lfunc_end206-_Z6kernelI27subtract_right_partial_tileLj256ELj4ELb0EJPdPiS1_jEEvDpT3_
                                        ; -- End function
	.section	.AMDGPU.csdata,"",@progbits
; Kernel info:
; codeLenInByte = 528
; NumSgprs: 18
; NumVgprs: 24
; NumAgprs: 0
; TotalNumVgprs: 24
; ScratchSize: 0
; MemoryBound: 0
; FloatMode: 240
; IeeeMode: 1
; LDSByteSize: 4096 bytes/workgroup (compile time only)
; SGPRBlocks: 2
; VGPRBlocks: 2
; NumSGPRsForWavesPerEU: 18
; NumVGPRsForWavesPerEU: 24
; AccumOffset: 24
; Occupancy: 8
; WaveLimiterHint : 1
; COMPUTE_PGM_RSRC2:SCRATCH_EN: 0
; COMPUTE_PGM_RSRC2:USER_SGPR: 6
; COMPUTE_PGM_RSRC2:TRAP_HANDLER: 0
; COMPUTE_PGM_RSRC2:TGID_X_EN: 1
; COMPUTE_PGM_RSRC2:TGID_Y_EN: 0
; COMPUTE_PGM_RSRC2:TGID_Z_EN: 0
; COMPUTE_PGM_RSRC2:TIDIG_COMP_CNT: 0
; COMPUTE_PGM_RSRC3_GFX90A:ACCUM_OFFSET: 5
; COMPUTE_PGM_RSRC3_GFX90A:TG_SPLIT: 0
	.section	.text._Z6kernelI27subtract_right_partial_tileLj256ELj8ELb0EJPdPiS1_jEEvDpT3_,"axG",@progbits,_Z6kernelI27subtract_right_partial_tileLj256ELj8ELb0EJPdPiS1_jEEvDpT3_,comdat
	.protected	_Z6kernelI27subtract_right_partial_tileLj256ELj8ELb0EJPdPiS1_jEEvDpT3_ ; -- Begin function _Z6kernelI27subtract_right_partial_tileLj256ELj8ELb0EJPdPiS1_jEEvDpT3_
	.globl	_Z6kernelI27subtract_right_partial_tileLj256ELj8ELb0EJPdPiS1_jEEvDpT3_
	.p2align	8
	.type	_Z6kernelI27subtract_right_partial_tileLj256ELj8ELb0EJPdPiS1_jEEvDpT3_,@function
_Z6kernelI27subtract_right_partial_tileLj256ELj8ELb0EJPdPiS1_jEEvDpT3_: ; @_Z6kernelI27subtract_right_partial_tileLj256ELj8ELb0EJPdPiS1_jEEvDpT3_
; %bb.0:
	s_load_dwordx4 s[0:3], s[4:5], 0x0
	s_load_dwordx2 s[8:9], s[4:5], 0x10
	s_lshl_b32 s12, s6, 11
	s_mov_b32 s13, 0
	s_lshl_b64 s[10:11], s[12:13], 3
	s_waitcnt lgkmcnt(0)
	s_add_u32 s0, s0, s10
	s_addc_u32 s1, s1, s11
	v_lshlrev_b32_e32 v1, 3, v0
	v_mov_b32_e32 v2, s1
	v_add_co_u32_e32 v12, vcc, s0, v1
	v_addc_co_u32_e32 v13, vcc, 0, v2, vcc
	global_load_dwordx2 v[4:5], v1, s[0:1]
	global_load_dwordx2 v[2:3], v1, s[0:1] offset:2048
	s_movk_i32 s0, 0x1000
	v_add_co_u32_e32 v18, vcc, s0, v12
	v_addc_co_u32_e32 v19, vcc, 0, v13, vcc
	s_movk_i32 s0, 0x2000
	v_add_co_u32_e32 v10, vcc, s0, v12
	v_addc_co_u32_e32 v11, vcc, 0, v13, vcc
	s_movk_i32 s0, 0x3000
	v_add_co_u32_e32 v20, vcc, s0, v12
	global_load_dwordx2 v[14:15], v[10:11], off offset:-4096
	global_load_dwordx2 v[8:9], v[10:11], off
	global_load_dwordx2 v[6:7], v[10:11], off offset:2048
	v_addc_co_u32_e32 v21, vcc, 0, v13, vcc
	global_load_dwordx2 v[16:17], v[18:19], off offset:2048
	global_load_dwordx2 v[12:13], v[20:21], off
	global_load_dwordx2 v[10:11], v[20:21], off offset:2048
	s_load_dword s4, s[4:5], 0x18
	s_mov_b32 s7, s13
	s_lshl_b64 s[0:1], s[6:7], 2
	s_add_u32 s0, s2, s0
	s_addc_u32 s1, s3, s1
	s_waitcnt lgkmcnt(0)
	v_cvt_f32_u32_e32 v18, s4
	s_load_dword s2, s[0:1], 0x0
	s_sub_i32 s0, 0, s4
	v_or_b32_e32 v20, 1, v1
	v_rcp_iflag_f32_e32 v18, v18
	v_or_b32_e32 v21, 2, v1
	v_or_b32_e32 v22, 3, v1
	;; [unrolled: 1-line block ×3, first 2 shown]
	v_mul_f32_e32 v18, 0x4f7ffffe, v18
	v_cvt_u32_f32_e32 v18, v18
	v_or_b32_e32 v24, 5, v1
	v_or_b32_e32 v25, 6, v1
	v_or_b32_e32 v26, 7, v1
	v_readfirstlane_b32 s1, v18
	s_mul_i32 s0, s0, s1
	s_mul_hi_u32 s0, s1, s0
	s_add_i32 s1, s1, s0
	s_lshr_b32 s0, s1, 21
	s_mul_i32 s1, s0, s4
	s_sub_i32 s1, 0x800, s1
	s_add_i32 s3, s0, 1
	s_sub_i32 s5, s1, s4
	s_cmp_ge_u32 s1, s4
	s_cselect_b32 s0, s3, s0
	s_cselect_b32 s1, s5, s1
	s_add_i32 s3, s0, 1
	s_cmp_ge_u32 s1, s4
	s_cselect_b32 s3, s3, s0
	s_add_i32 s3, s3, 1
	v_add_u32_e32 v27, 8, v1
	v_or_b32_e32 v28, 0x800, v1
	s_max_u32 s4, s4, 1
	s_branch .LBB207_2
.LBB207_1:                              ;   in Loop: Header=BB207_2 Depth=1
	s_or_b64 exec, exec, s[0:1]
	v_add_f64 v[30:31], v[4:5], -v[2:3]
	v_cmp_gt_u32_e32 vcc, s2, v20
	v_cndmask_b32_e32 v31, v5, v31, vcc
	v_cndmask_b32_e32 v30, v4, v30, vcc
	v_add_f64 v[32:33], v[2:3], -v[14:15]
	v_cmp_gt_u32_e32 vcc, s2, v21
	v_cndmask_b32_e32 v33, v3, v33, vcc
	v_cndmask_b32_e32 v32, v2, v32, vcc
	;; [unrolled: 4-line block ×6, first 2 shown]
	v_add_f64 v[42:43], v[12:13], -v[10:11]
	v_cmp_gt_u32_e32 vcc, s2, v26
	s_add_i32 s0, s3, s2
	v_cndmask_b32_e32 v43, v13, v43, vcc
	v_cndmask_b32_e32 v42, v12, v42, vcc
	s_and_b32 s2, s0, 0x7ff
	s_add_i32 s4, s4, -1
	v_add_f64 v[4:5], v[4:5], v[30:31]
	v_add_f64 v[2:3], v[2:3], v[32:33]
	;; [unrolled: 1-line block ×8, first 2 shown]
	s_cmp_lg_u32 s4, 0
	s_barrier
	s_cbranch_scc0 .LBB207_4
.LBB207_2:                              ; =>This Inner Loop Header: Depth=1
	s_waitcnt lgkmcnt(0)
	v_cmp_gt_u32_e32 vcc, s2, v27
	s_waitcnt vmcnt(0)
	v_pk_mov_b32 v[18:19], v[10:11], v[10:11] op_sel:[0,1]
	ds_write_b64 v1, v[4:5] offset:2048
	s_waitcnt lgkmcnt(0)
	s_barrier
	s_and_saveexec_b64 s[0:1], vcc
	s_cbranch_execz .LBB207_1
; %bb.3:                                ;   in Loop: Header=BB207_2 Depth=1
	ds_read_b64 v[18:19], v28 offset:8
	s_waitcnt lgkmcnt(0)
	v_add_f64 v[18:19], v[10:11], -v[18:19]
	s_branch .LBB207_1
.LBB207_4:
	s_add_u32 s0, s8, s10
	s_addc_u32 s1, s9, s11
	v_lshlrev_b32_e32 v0, 3, v0
	v_mov_b32_e32 v1, s1
	v_add_co_u32_e32 v18, vcc, s0, v0
	v_addc_co_u32_e32 v19, vcc, 0, v1, vcc
	global_store_dwordx2 v0, v[4:5], s[0:1]
	global_store_dwordx2 v0, v[2:3], s[0:1] offset:2048
	v_add_co_u32_e32 v0, vcc, 0x1000, v18
	v_addc_co_u32_e32 v1, vcc, 0, v19, vcc
	global_store_dwordx2 v[0:1], v[14:15], off
	global_store_dwordx2 v[0:1], v[16:17], off offset:2048
	v_add_co_u32_e32 v0, vcc, 0x2000, v18
	v_addc_co_u32_e32 v1, vcc, 0, v19, vcc
	global_store_dwordx2 v[0:1], v[8:9], off
	global_store_dwordx2 v[0:1], v[6:7], off offset:2048
	;; [unrolled: 4-line block ×3, first 2 shown]
	s_endpgm
	.section	.rodata,"a",@progbits
	.p2align	6, 0x0
	.amdhsa_kernel _Z6kernelI27subtract_right_partial_tileLj256ELj8ELb0EJPdPiS1_jEEvDpT3_
		.amdhsa_group_segment_fixed_size 4096
		.amdhsa_private_segment_fixed_size 0
		.amdhsa_kernarg_size 28
		.amdhsa_user_sgpr_count 6
		.amdhsa_user_sgpr_private_segment_buffer 1
		.amdhsa_user_sgpr_dispatch_ptr 0
		.amdhsa_user_sgpr_queue_ptr 0
		.amdhsa_user_sgpr_kernarg_segment_ptr 1
		.amdhsa_user_sgpr_dispatch_id 0
		.amdhsa_user_sgpr_flat_scratch_init 0
		.amdhsa_user_sgpr_kernarg_preload_length 0
		.amdhsa_user_sgpr_kernarg_preload_offset 0
		.amdhsa_user_sgpr_private_segment_size 0
		.amdhsa_uses_dynamic_stack 0
		.amdhsa_system_sgpr_private_segment_wavefront_offset 0
		.amdhsa_system_sgpr_workgroup_id_x 1
		.amdhsa_system_sgpr_workgroup_id_y 0
		.amdhsa_system_sgpr_workgroup_id_z 0
		.amdhsa_system_sgpr_workgroup_info 0
		.amdhsa_system_vgpr_workitem_id 0
		.amdhsa_next_free_vgpr 44
		.amdhsa_next_free_sgpr 14
		.amdhsa_accum_offset 44
		.amdhsa_reserve_vcc 1
		.amdhsa_reserve_flat_scratch 0
		.amdhsa_float_round_mode_32 0
		.amdhsa_float_round_mode_16_64 0
		.amdhsa_float_denorm_mode_32 3
		.amdhsa_float_denorm_mode_16_64 3
		.amdhsa_dx10_clamp 1
		.amdhsa_ieee_mode 1
		.amdhsa_fp16_overflow 0
		.amdhsa_tg_split 0
		.amdhsa_exception_fp_ieee_invalid_op 0
		.amdhsa_exception_fp_denorm_src 0
		.amdhsa_exception_fp_ieee_div_zero 0
		.amdhsa_exception_fp_ieee_overflow 0
		.amdhsa_exception_fp_ieee_underflow 0
		.amdhsa_exception_fp_ieee_inexact 0
		.amdhsa_exception_int_div_zero 0
	.end_amdhsa_kernel
	.section	.text._Z6kernelI27subtract_right_partial_tileLj256ELj8ELb0EJPdPiS1_jEEvDpT3_,"axG",@progbits,_Z6kernelI27subtract_right_partial_tileLj256ELj8ELb0EJPdPiS1_jEEvDpT3_,comdat
.Lfunc_end207:
	.size	_Z6kernelI27subtract_right_partial_tileLj256ELj8ELb0EJPdPiS1_jEEvDpT3_, .Lfunc_end207-_Z6kernelI27subtract_right_partial_tileLj256ELj8ELb0EJPdPiS1_jEEvDpT3_
                                        ; -- End function
	.section	.AMDGPU.csdata,"",@progbits
; Kernel info:
; codeLenInByte = 764
; NumSgprs: 18
; NumVgprs: 44
; NumAgprs: 0
; TotalNumVgprs: 44
; ScratchSize: 0
; MemoryBound: 0
; FloatMode: 240
; IeeeMode: 1
; LDSByteSize: 4096 bytes/workgroup (compile time only)
; SGPRBlocks: 2
; VGPRBlocks: 5
; NumSGPRsForWavesPerEU: 18
; NumVGPRsForWavesPerEU: 44
; AccumOffset: 44
; Occupancy: 8
; WaveLimiterHint : 1
; COMPUTE_PGM_RSRC2:SCRATCH_EN: 0
; COMPUTE_PGM_RSRC2:USER_SGPR: 6
; COMPUTE_PGM_RSRC2:TRAP_HANDLER: 0
; COMPUTE_PGM_RSRC2:TGID_X_EN: 1
; COMPUTE_PGM_RSRC2:TGID_Y_EN: 0
; COMPUTE_PGM_RSRC2:TGID_Z_EN: 0
; COMPUTE_PGM_RSRC2:TIDIG_COMP_CNT: 0
; COMPUTE_PGM_RSRC3_GFX90A:ACCUM_OFFSET: 10
; COMPUTE_PGM_RSRC3_GFX90A:TG_SPLIT: 0
	.section	.text._Z6kernelI27subtract_right_partial_tileLj256ELj16ELb0EJPdPiS1_jEEvDpT3_,"axG",@progbits,_Z6kernelI27subtract_right_partial_tileLj256ELj16ELb0EJPdPiS1_jEEvDpT3_,comdat
	.protected	_Z6kernelI27subtract_right_partial_tileLj256ELj16ELb0EJPdPiS1_jEEvDpT3_ ; -- Begin function _Z6kernelI27subtract_right_partial_tileLj256ELj16ELb0EJPdPiS1_jEEvDpT3_
	.globl	_Z6kernelI27subtract_right_partial_tileLj256ELj16ELb0EJPdPiS1_jEEvDpT3_
	.p2align	8
	.type	_Z6kernelI27subtract_right_partial_tileLj256ELj16ELb0EJPdPiS1_jEEvDpT3_,@function
_Z6kernelI27subtract_right_partial_tileLj256ELj16ELb0EJPdPiS1_jEEvDpT3_: ; @_Z6kernelI27subtract_right_partial_tileLj256ELj16ELb0EJPdPiS1_jEEvDpT3_
; %bb.0:
	s_load_dwordx4 s[0:3], s[4:5], 0x0
	s_load_dwordx2 s[8:9], s[4:5], 0x10
	s_lshl_b32 s12, s6, 12
	s_mov_b32 s13, 0
	s_lshl_b64 s[10:11], s[12:13], 3
	s_waitcnt lgkmcnt(0)
	s_add_u32 s0, s0, s10
	s_addc_u32 s1, s1, s11
	v_lshlrev_b32_e32 v1, 3, v0
	v_mov_b32_e32 v2, s1
	v_add_co_u32_e32 v28, vcc, s0, v1
	v_addc_co_u32_e32 v29, vcc, 0, v2, vcc
	global_load_dwordx2 v[4:5], v1, s[0:1]
	global_load_dwordx2 v[2:3], v1, s[0:1] offset:2048
	s_movk_i32 s0, 0x1000
	v_add_co_u32_e32 v34, vcc, s0, v28
	v_addc_co_u32_e32 v35, vcc, 0, v29, vcc
	s_movk_i32 s0, 0x2000
	v_add_co_u32_e32 v6, vcc, s0, v28
	v_addc_co_u32_e32 v7, vcc, 0, v29, vcc
	;; [unrolled: 3-line block ×6, first 2 shown]
	s_movk_i32 s0, 0x7000
	v_add_co_u32_e32 v40, vcc, s0, v28
	global_load_dwordx2 v[26:27], v[6:7], off offset:-4096
	global_load_dwordx2 v[20:21], v[6:7], off
	global_load_dwordx2 v[18:19], v[6:7], off offset:2048
	global_load_dwordx2 v[10:11], v[12:13], off offset:-4096
	global_load_dwordx2 v[24:25], v[12:13], off
	global_load_dwordx2 v[22:23], v[12:13], off offset:2048
	;; [unrolled: 3-line block ×3, first 2 shown]
	v_addc_co_u32_e32 v41, vcc, 0, v29, vcc
	global_load_dwordx2 v[32:33], v[34:35], off offset:2048
	global_load_dwordx2 v[30:31], v[36:37], off offset:2048
	;; [unrolled: 1-line block ×3, first 2 shown]
	global_load_dwordx2 v[14:15], v[40:41], off
	global_load_dwordx2 v[12:13], v[40:41], off offset:2048
	s_load_dword s4, s[4:5], 0x18
	s_mov_b32 s7, s13
	s_lshl_b64 s[0:1], s[6:7], 2
	s_add_u32 s0, s2, s0
	s_addc_u32 s1, s3, s1
	s_waitcnt lgkmcnt(0)
	v_cvt_f32_u32_e32 v34, s4
	s_load_dword s2, s[0:1], 0x0
	s_sub_i32 s0, 0, s4
	v_or_b32_e32 v52, 0x800, v1
	v_rcp_iflag_f32_e32 v34, v34
	v_mul_f32_e32 v34, 0x4f7ffffe, v34
	v_cvt_u32_f32_e32 v34, v34
	v_readfirstlane_b32 s1, v34
	s_mul_i32 s0, s0, s1
	s_mul_hi_u32 s0, s1, s0
	s_add_i32 s1, s1, s0
	s_lshr_b32 s0, s1, 20
	s_mul_i32 s1, s0, s4
	s_sub_i32 s1, 0x1000, s1
	s_add_i32 s3, s0, 1
	s_sub_i32 s5, s1, s4
	s_cmp_ge_u32 s1, s4
	s_cselect_b32 s0, s3, s0
	s_cselect_b32 s1, s5, s1
	s_add_i32 s3, s0, 1
	s_cmp_ge_u32 s1, s4
	s_cselect_b32 s3, s3, s0
	v_lshlrev_b32_e32 v34, 4, v0
	s_add_i32 s3, s3, 1
	v_or_b32_e32 v36, 1, v34
	v_or_b32_e32 v37, 2, v34
	v_or_b32_e32 v38, 3, v34
	v_or_b32_e32 v39, 4, v34
	v_or_b32_e32 v40, 5, v34
	v_or_b32_e32 v41, 6, v34
	v_or_b32_e32 v42, 7, v34
	v_or_b32_e32 v43, 8, v34
	v_or_b32_e32 v44, 9, v34
	v_or_b32_e32 v45, 10, v34
	v_or_b32_e32 v46, 11, v34
	v_or_b32_e32 v47, 12, v34
	v_or_b32_e32 v48, 13, v34
	v_or_b32_e32 v49, 14, v34
	v_or_b32_e32 v50, 15, v34
	v_add_u32_e32 v51, 16, v34
	s_max_u32 s4, s4, 1
	s_branch .LBB208_2
.LBB208_1:                              ;   in Loop: Header=BB208_2 Depth=1
	s_or_b64 exec, exec, s[0:1]
	v_add_f64 v[54:55], v[4:5], -v[2:3]
	v_cmp_gt_u32_e32 vcc, s2, v36
	v_cndmask_b32_e32 v55, v5, v55, vcc
	v_cndmask_b32_e32 v54, v4, v54, vcc
	v_add_f64 v[56:57], v[2:3], -v[26:27]
	v_cmp_gt_u32_e32 vcc, s2, v37
	v_cndmask_b32_e32 v57, v3, v57, vcc
	v_cndmask_b32_e32 v56, v2, v56, vcc
	;; [unrolled: 4-line block ×14, first 2 shown]
	v_add_f64 v[82:83], v[14:15], -v[12:13]
	v_cmp_gt_u32_e32 vcc, s2, v50
	s_add_i32 s0, s3, s2
	v_cndmask_b32_e32 v83, v15, v83, vcc
	v_cndmask_b32_e32 v82, v14, v82, vcc
	s_and_b32 s2, s0, 0xfff
	s_add_i32 s4, s4, -1
	v_add_f64 v[4:5], v[4:5], v[54:55]
	v_add_f64 v[2:3], v[2:3], v[56:57]
	;; [unrolled: 1-line block ×16, first 2 shown]
	s_cmp_lg_u32 s4, 0
	s_barrier
	s_cbranch_scc0 .LBB208_4
.LBB208_2:                              ; =>This Inner Loop Header: Depth=1
	s_waitcnt lgkmcnt(0)
	v_cmp_gt_u32_e32 vcc, s2, v51
	s_waitcnt vmcnt(0)
	v_pk_mov_b32 v[34:35], v[12:13], v[12:13] op_sel:[0,1]
	ds_write_b64 v1, v[4:5] offset:2048
	s_waitcnt lgkmcnt(0)
	s_barrier
	s_and_saveexec_b64 s[0:1], vcc
	s_cbranch_execz .LBB208_1
; %bb.3:                                ;   in Loop: Header=BB208_2 Depth=1
	ds_read_b64 v[34:35], v52 offset:8
	s_waitcnt lgkmcnt(0)
	v_add_f64 v[34:35], v[12:13], -v[34:35]
	s_branch .LBB208_1
.LBB208_4:
	s_add_u32 s0, s8, s10
	s_addc_u32 s1, s9, s11
	v_lshlrev_b32_e32 v0, 3, v0
	v_mov_b32_e32 v1, s1
	v_add_co_u32_e32 v34, vcc, s0, v0
	v_addc_co_u32_e32 v35, vcc, 0, v1, vcc
	global_store_dwordx2 v0, v[4:5], s[0:1]
	global_store_dwordx2 v0, v[2:3], s[0:1] offset:2048
	v_add_co_u32_e32 v0, vcc, 0x1000, v34
	v_addc_co_u32_e32 v1, vcc, 0, v35, vcc
	global_store_dwordx2 v[0:1], v[26:27], off
	global_store_dwordx2 v[0:1], v[32:33], off offset:2048
	v_add_co_u32_e32 v0, vcc, 0x2000, v34
	v_addc_co_u32_e32 v1, vcc, 0, v35, vcc
	global_store_dwordx2 v[0:1], v[20:21], off
	global_store_dwordx2 v[0:1], v[18:19], off offset:2048
	;; [unrolled: 4-line block ×7, first 2 shown]
	s_endpgm
	.section	.rodata,"a",@progbits
	.p2align	6, 0x0
	.amdhsa_kernel _Z6kernelI27subtract_right_partial_tileLj256ELj16ELb0EJPdPiS1_jEEvDpT3_
		.amdhsa_group_segment_fixed_size 4096
		.amdhsa_private_segment_fixed_size 0
		.amdhsa_kernarg_size 28
		.amdhsa_user_sgpr_count 6
		.amdhsa_user_sgpr_private_segment_buffer 1
		.amdhsa_user_sgpr_dispatch_ptr 0
		.amdhsa_user_sgpr_queue_ptr 0
		.amdhsa_user_sgpr_kernarg_segment_ptr 1
		.amdhsa_user_sgpr_dispatch_id 0
		.amdhsa_user_sgpr_flat_scratch_init 0
		.amdhsa_user_sgpr_kernarg_preload_length 0
		.amdhsa_user_sgpr_kernarg_preload_offset 0
		.amdhsa_user_sgpr_private_segment_size 0
		.amdhsa_uses_dynamic_stack 0
		.amdhsa_system_sgpr_private_segment_wavefront_offset 0
		.amdhsa_system_sgpr_workgroup_id_x 1
		.amdhsa_system_sgpr_workgroup_id_y 0
		.amdhsa_system_sgpr_workgroup_id_z 0
		.amdhsa_system_sgpr_workgroup_info 0
		.amdhsa_system_vgpr_workitem_id 0
		.amdhsa_next_free_vgpr 84
		.amdhsa_next_free_sgpr 14
		.amdhsa_accum_offset 84
		.amdhsa_reserve_vcc 1
		.amdhsa_reserve_flat_scratch 0
		.amdhsa_float_round_mode_32 0
		.amdhsa_float_round_mode_16_64 0
		.amdhsa_float_denorm_mode_32 3
		.amdhsa_float_denorm_mode_16_64 3
		.amdhsa_dx10_clamp 1
		.amdhsa_ieee_mode 1
		.amdhsa_fp16_overflow 0
		.amdhsa_tg_split 0
		.amdhsa_exception_fp_ieee_invalid_op 0
		.amdhsa_exception_fp_denorm_src 0
		.amdhsa_exception_fp_ieee_div_zero 0
		.amdhsa_exception_fp_ieee_overflow 0
		.amdhsa_exception_fp_ieee_underflow 0
		.amdhsa_exception_fp_ieee_inexact 0
		.amdhsa_exception_int_div_zero 0
	.end_amdhsa_kernel
	.section	.text._Z6kernelI27subtract_right_partial_tileLj256ELj16ELb0EJPdPiS1_jEEvDpT3_,"axG",@progbits,_Z6kernelI27subtract_right_partial_tileLj256ELj16ELb0EJPdPiS1_jEEvDpT3_,comdat
.Lfunc_end208:
	.size	_Z6kernelI27subtract_right_partial_tileLj256ELj16ELb0EJPdPiS1_jEEvDpT3_, .Lfunc_end208-_Z6kernelI27subtract_right_partial_tileLj256ELj16ELb0EJPdPiS1_jEEvDpT3_
                                        ; -- End function
	.section	.AMDGPU.csdata,"",@progbits
; Kernel info:
; codeLenInByte = 1248
; NumSgprs: 18
; NumVgprs: 84
; NumAgprs: 0
; TotalNumVgprs: 84
; ScratchSize: 0
; MemoryBound: 0
; FloatMode: 240
; IeeeMode: 1
; LDSByteSize: 4096 bytes/workgroup (compile time only)
; SGPRBlocks: 2
; VGPRBlocks: 10
; NumSGPRsForWavesPerEU: 18
; NumVGPRsForWavesPerEU: 84
; AccumOffset: 84
; Occupancy: 5
; WaveLimiterHint : 1
; COMPUTE_PGM_RSRC2:SCRATCH_EN: 0
; COMPUTE_PGM_RSRC2:USER_SGPR: 6
; COMPUTE_PGM_RSRC2:TRAP_HANDLER: 0
; COMPUTE_PGM_RSRC2:TGID_X_EN: 1
; COMPUTE_PGM_RSRC2:TGID_Y_EN: 0
; COMPUTE_PGM_RSRC2:TGID_Z_EN: 0
; COMPUTE_PGM_RSRC2:TIDIG_COMP_CNT: 0
; COMPUTE_PGM_RSRC3_GFX90A:ACCUM_OFFSET: 20
; COMPUTE_PGM_RSRC3_GFX90A:TG_SPLIT: 0
	.section	.text._Z6kernelI27subtract_right_partial_tileLj256ELj32ELb0EJPdPiS1_jEEvDpT3_,"axG",@progbits,_Z6kernelI27subtract_right_partial_tileLj256ELj32ELb0EJPdPiS1_jEEvDpT3_,comdat
	.protected	_Z6kernelI27subtract_right_partial_tileLj256ELj32ELb0EJPdPiS1_jEEvDpT3_ ; -- Begin function _Z6kernelI27subtract_right_partial_tileLj256ELj32ELb0EJPdPiS1_jEEvDpT3_
	.globl	_Z6kernelI27subtract_right_partial_tileLj256ELj32ELb0EJPdPiS1_jEEvDpT3_
	.p2align	8
	.type	_Z6kernelI27subtract_right_partial_tileLj256ELj32ELb0EJPdPiS1_jEEvDpT3_,@function
_Z6kernelI27subtract_right_partial_tileLj256ELj32ELb0EJPdPiS1_jEEvDpT3_: ; @_Z6kernelI27subtract_right_partial_tileLj256ELj32ELb0EJPdPiS1_jEEvDpT3_
; %bb.0:
	s_load_dwordx4 s[0:3], s[4:5], 0x0
	s_load_dwordx2 s[8:9], s[4:5], 0x10
	s_lshl_b32 s12, s6, 13
	s_mov_b32 s13, 0
	s_lshl_b64 s[10:11], s[12:13], 3
	s_waitcnt lgkmcnt(0)
	s_add_u32 s0, s0, s10
	s_addc_u32 s1, s1, s11
	v_lshlrev_b32_e32 v1, 3, v0
	v_mov_b32_e32 v2, s1
	v_add_co_u32_e32 v46, vcc, s0, v1
	v_addc_co_u32_e32 v47, vcc, 0, v2, vcc
	s_movk_i32 s7, 0x1000
	v_add_co_u32_e32 v30, vcc, s7, v46
	v_addc_co_u32_e32 v31, vcc, 0, v47, vcc
	s_movk_i32 s7, 0x2000
	;; [unrolled: 3-line block ×7, first 2 shown]
	v_add_co_u32_e32 v42, vcc, s7, v46
	v_addc_co_u32_e32 v43, vcc, 0, v47, vcc
	s_mov_b32 s7, 0x8000
	v_add_co_u32_e32 v44, vcc, s7, v46
	v_addc_co_u32_e32 v45, vcc, 0, v47, vcc
	s_mov_b32 s7, 0x9000
	;; [unrolled: 3-line block ×3, first 2 shown]
	global_load_dwordx2 v[22:23], v[2:3], off offset:-4096
	global_load_dwordx2 v[10:11], v[2:3], off
	global_load_dwordx2 v[8:9], v[2:3], off offset:2048
	global_load_dwordx2 v[4:5], v[12:13], off offset:-4096
	global_load_dwordx2 v[18:19], v[12:13], off
	global_load_dwordx2 v[16:17], v[12:13], off offset:2048
	global_load_dwordx2 v[6:7], v[36:37], off offset:-4096
	s_nop 0
	global_load_dwordx2 v[2:3], v[36:37], off
	global_load_dwordx2 v[40:41], v[30:31], off offset:2048
	global_load_dwordx2 v[38:39], v[32:33], off offset:2048
	global_load_dwordx2 v[28:29], v[34:35], off offset:2048
	global_load_dwordx2 v[20:21], v[42:43], off offset:2048
	global_load_dwordx2 v[26:27], v[36:37], off offset:2048
	global_load_dwordx2 v[24:25], v[44:45], off offset:-4096
	global_load_dwordx2 v[14:15], v[44:45], off
	global_load_dwordx2 v[12:13], v[44:45], off offset:2048
	v_add_co_u32_e32 v42, vcc, s7, v46
	v_addc_co_u32_e32 v43, vcc, 0, v47, vcc
	s_mov_b32 s7, 0xb000
	v_add_co_u32_e32 v68, vcc, s7, v46
	v_addc_co_u32_e32 v69, vcc, 0, v47, vcc
	s_mov_b32 s7, 0xc000
	;; [unrolled: 3-line block ×5, first 2 shown]
	v_add_co_u32_e32 v76, vcc, s7, v46
	global_load_dwordx2 v[36:37], v[42:43], off offset:-4096
	global_load_dwordx2 v[34:35], v[42:43], off
	global_load_dwordx2 v[32:33], v[42:43], off offset:2048
	global_load_dwordx2 v[30:31], v[70:71], off offset:-4096
	v_addc_co_u32_e32 v77, vcc, 0, v47, vcc
	global_load_dwordx2 v[56:57], v[70:71], off
	global_load_dwordx2 v[54:55], v[70:71], off offset:2048
	global_load_dwordx2 v[50:51], v[74:75], off offset:-4096
	global_load_dwordx2 v[48:49], v[74:75], off
	global_load_dwordx2 v[46:47], v[74:75], off offset:2048
	global_load_dwordx2 v[60:61], v[66:67], off offset:2048
	;; [unrolled: 1-line block ×4, first 2 shown]
	global_load_dwordx2 v[44:45], v[76:77], off
	global_load_dwordx2 v[42:43], v[76:77], off offset:2048
	global_load_dwordx2 v[64:65], v1, s[0:1]
	global_load_dwordx2 v[62:63], v1, s[0:1] offset:2048
	s_load_dword s4, s[4:5], 0x18
	s_mov_b32 s7, s13
	s_lshl_b64 s[0:1], s[6:7], 2
	s_add_u32 s0, s2, s0
	s_addc_u32 s1, s3, s1
	s_waitcnt lgkmcnt(0)
	v_cvt_f32_u32_e32 v66, s4
	s_load_dword s2, s[0:1], 0x0
	s_sub_i32 s0, 0, s4
	v_or_b32_e32 v100, 0x800, v1
	v_rcp_iflag_f32_e32 v66, v66
	v_mul_f32_e32 v66, 0x4f7ffffe, v66
	v_cvt_u32_f32_e32 v66, v66
	v_readfirstlane_b32 s5, v66
	s_mul_i32 s0, s0, s5
	s_mul_hi_u32 s0, s5, s0
	s_add_i32 s5, s5, s0
	s_lshr_b32 s0, s5, 19
	s_mul_i32 s1, s0, s4
	s_sub_i32 s1, 0x2000, s1
	s_add_i32 s3, s0, 1
	s_sub_i32 s5, s1, s4
	s_cmp_ge_u32 s1, s4
	s_cselect_b32 s0, s3, s0
	s_cselect_b32 s1, s5, s1
	s_add_i32 s3, s0, 1
	s_cmp_ge_u32 s1, s4
	s_cselect_b32 s3, s3, s0
	v_lshlrev_b32_e32 v66, 5, v0
	s_add_i32 s3, s3, 1
	v_or_b32_e32 v68, 1, v66
	v_or_b32_e32 v69, 2, v66
	;; [unrolled: 1-line block ×31, first 2 shown]
	v_add_u32_e32 v99, 32, v66
	s_max_u32 s4, s4, 1
	s_branch .LBB209_2
.LBB209_1:                              ;   in Loop: Header=BB209_2 Depth=1
	s_or_b64 exec, exec, s[0:1]
	s_waitcnt vmcnt(0)
	v_add_f64 v[102:103], v[64:65], -v[62:63]
	v_cmp_gt_u32_e32 vcc, s2, v68
	v_cndmask_b32_e32 v103, v65, v103, vcc
	v_cndmask_b32_e32 v102, v64, v102, vcc
	v_add_f64 v[104:105], v[62:63], -v[22:23]
	v_cmp_gt_u32_e32 vcc, s2, v69
	v_cndmask_b32_e32 v105, v63, v105, vcc
	v_cndmask_b32_e32 v104, v62, v104, vcc
	v_add_f64 v[106:107], v[22:23], -v[40:41]
	v_cmp_gt_u32_e32 vcc, s2, v70
	v_cndmask_b32_e32 v107, v23, v107, vcc
	v_cndmask_b32_e32 v106, v22, v106, vcc
	v_add_f64 v[108:109], v[40:41], -v[10:11]
	v_cmp_gt_u32_e32 vcc, s2, v71
	v_cndmask_b32_e32 v109, v41, v109, vcc
	v_cndmask_b32_e32 v108, v40, v108, vcc
	v_add_f64 v[110:111], v[10:11], -v[8:9]
	v_cmp_gt_u32_e32 vcc, s2, v72
	v_cndmask_b32_e32 v111, v11, v111, vcc
	v_cndmask_b32_e32 v110, v10, v110, vcc
	v_add_f64 v[112:113], v[8:9], -v[4:5]
	v_cmp_gt_u32_e32 vcc, s2, v73
	v_cndmask_b32_e32 v113, v9, v113, vcc
	v_cndmask_b32_e32 v112, v8, v112, vcc
	v_add_f64 v[114:115], v[4:5], -v[38:39]
	v_cmp_gt_u32_e32 vcc, s2, v74
	v_cndmask_b32_e32 v115, v5, v115, vcc
	v_cndmask_b32_e32 v114, v4, v114, vcc
	v_add_f64 v[116:117], v[38:39], -v[18:19]
	v_cmp_gt_u32_e32 vcc, s2, v75
	v_cndmask_b32_e32 v117, v39, v117, vcc
	v_cndmask_b32_e32 v116, v38, v116, vcc
	v_add_f64 v[118:119], v[18:19], -v[16:17]
	v_cmp_gt_u32_e32 vcc, s2, v76
	v_cndmask_b32_e32 v119, v19, v119, vcc
	v_cndmask_b32_e32 v118, v18, v118, vcc
	v_add_f64 v[120:121], v[16:17], -v[6:7]
	v_cmp_gt_u32_e32 vcc, s2, v77
	v_cndmask_b32_e32 v121, v17, v121, vcc
	v_cndmask_b32_e32 v120, v16, v120, vcc
	v_add_f64 v[122:123], v[6:7], -v[28:29]
	v_cmp_gt_u32_e32 vcc, s2, v78
	v_cndmask_b32_e32 v123, v7, v123, vcc
	v_cndmask_b32_e32 v122, v6, v122, vcc
	v_add_f64 v[124:125], v[28:29], -v[2:3]
	v_cmp_gt_u32_e32 vcc, s2, v79
	v_cndmask_b32_e32 v125, v29, v125, vcc
	v_cndmask_b32_e32 v124, v28, v124, vcc
	v_add_f64 v[126:127], v[2:3], -v[26:27]
	v_cmp_gt_u32_e32 vcc, s2, v80
	v_cndmask_b32_e32 v127, v3, v127, vcc
	v_cndmask_b32_e32 v126, v2, v126, vcc
	v_add_f64 v[128:129], v[26:27], -v[24:25]
	v_cmp_gt_u32_e32 vcc, s2, v81
	v_cndmask_b32_e32 v129, v27, v129, vcc
	v_cndmask_b32_e32 v128, v26, v128, vcc
	v_add_f64 v[130:131], v[24:25], -v[20:21]
	v_cmp_gt_u32_e32 vcc, s2, v82
	v_cndmask_b32_e32 v131, v25, v131, vcc
	v_cndmask_b32_e32 v130, v24, v130, vcc
	v_add_f64 v[132:133], v[20:21], -v[14:15]
	v_cmp_gt_u32_e32 vcc, s2, v83
	v_cndmask_b32_e32 v133, v21, v133, vcc
	v_cndmask_b32_e32 v132, v20, v132, vcc
	v_add_f64 v[134:135], v[14:15], -v[12:13]
	v_cmp_gt_u32_e32 vcc, s2, v84
	v_cndmask_b32_e32 v135, v15, v135, vcc
	v_cndmask_b32_e32 v134, v14, v134, vcc
	v_add_f64 v[136:137], v[12:13], -v[36:37]
	v_cmp_gt_u32_e32 vcc, s2, v85
	v_cndmask_b32_e32 v137, v13, v137, vcc
	v_cndmask_b32_e32 v136, v12, v136, vcc
	v_add_f64 v[138:139], v[36:37], -v[60:61]
	v_cmp_gt_u32_e32 vcc, s2, v86
	v_cndmask_b32_e32 v139, v37, v139, vcc
	v_cndmask_b32_e32 v138, v36, v138, vcc
	v_add_f64 v[140:141], v[60:61], -v[34:35]
	v_cmp_gt_u32_e32 vcc, s2, v87
	v_cndmask_b32_e32 v141, v61, v141, vcc
	v_cndmask_b32_e32 v140, v60, v140, vcc
	v_add_f64 v[142:143], v[34:35], -v[32:33]
	v_cmp_gt_u32_e32 vcc, s2, v88
	v_cndmask_b32_e32 v143, v35, v143, vcc
	v_cndmask_b32_e32 v142, v34, v142, vcc
	v_add_f64 v[144:145], v[32:33], -v[30:31]
	v_cmp_gt_u32_e32 vcc, s2, v89
	v_cndmask_b32_e32 v145, v33, v145, vcc
	v_cndmask_b32_e32 v144, v32, v144, vcc
	v_add_f64 v[146:147], v[30:31], -v[58:59]
	v_cmp_gt_u32_e32 vcc, s2, v90
	v_cndmask_b32_e32 v147, v31, v147, vcc
	v_cndmask_b32_e32 v146, v30, v146, vcc
	v_add_f64 v[148:149], v[58:59], -v[56:57]
	v_cmp_gt_u32_e32 vcc, s2, v91
	v_cndmask_b32_e32 v149, v59, v149, vcc
	v_cndmask_b32_e32 v148, v58, v148, vcc
	v_add_f64 v[150:151], v[56:57], -v[54:55]
	v_cmp_gt_u32_e32 vcc, s2, v92
	v_cndmask_b32_e32 v151, v57, v151, vcc
	v_cndmask_b32_e32 v150, v56, v150, vcc
	v_add_f64 v[152:153], v[54:55], -v[50:51]
	v_cmp_gt_u32_e32 vcc, s2, v93
	v_cndmask_b32_e32 v153, v55, v153, vcc
	v_cndmask_b32_e32 v152, v54, v152, vcc
	v_add_f64 v[154:155], v[50:51], -v[52:53]
	v_cmp_gt_u32_e32 vcc, s2, v94
	v_cndmask_b32_e32 v155, v51, v155, vcc
	v_cndmask_b32_e32 v154, v50, v154, vcc
	v_add_f64 v[156:157], v[52:53], -v[48:49]
	v_cmp_gt_u32_e32 vcc, s2, v95
	v_cndmask_b32_e32 v157, v53, v157, vcc
	v_cndmask_b32_e32 v156, v52, v156, vcc
	v_add_f64 v[158:159], v[48:49], -v[46:47]
	v_cmp_gt_u32_e32 vcc, s2, v96
	v_cndmask_b32_e32 v159, v49, v159, vcc
	v_cndmask_b32_e32 v158, v48, v158, vcc
	v_add_f64 v[160:161], v[46:47], -v[44:45]
	v_cmp_gt_u32_e32 vcc, s2, v97
	v_cndmask_b32_e32 v161, v47, v161, vcc
	v_cndmask_b32_e32 v160, v46, v160, vcc
	v_add_f64 v[162:163], v[44:45], -v[42:43]
	v_cmp_gt_u32_e32 vcc, s2, v98
	s_add_i32 s0, s3, s2
	v_cndmask_b32_e32 v163, v45, v163, vcc
	v_cndmask_b32_e32 v162, v44, v162, vcc
	s_and_b32 s2, s0, 0x1fff
	s_add_i32 s4, s4, -1
	v_add_f64 v[64:65], v[64:65], v[102:103]
	v_add_f64 v[62:63], v[62:63], v[104:105]
	;; [unrolled: 1-line block ×32, first 2 shown]
	s_cmp_lg_u32 s4, 0
	s_barrier
	s_cbranch_scc0 .LBB209_4
.LBB209_2:                              ; =>This Inner Loop Header: Depth=1
	s_waitcnt lgkmcnt(0)
	v_cmp_gt_u32_e32 vcc, s2, v99
	s_waitcnt vmcnt(2)
	v_pk_mov_b32 v[66:67], v[42:43], v[42:43] op_sel:[0,1]
	s_waitcnt vmcnt(1)
	ds_write_b64 v1, v[64:65] offset:2048
	s_waitcnt lgkmcnt(0)
	s_barrier
	s_and_saveexec_b64 s[0:1], vcc
	s_cbranch_execz .LBB209_1
; %bb.3:                                ;   in Loop: Header=BB209_2 Depth=1
	ds_read_b64 v[66:67], v100 offset:8
	s_waitcnt lgkmcnt(0)
	v_add_f64 v[66:67], v[42:43], -v[66:67]
	s_branch .LBB209_1
.LBB209_4:
	s_add_u32 s0, s8, s10
	s_addc_u32 s1, s9, s11
	v_lshlrev_b32_e32 v0, 3, v0
	v_mov_b32_e32 v1, s1
	v_add_co_u32_e32 v66, vcc, s0, v0
	v_addc_co_u32_e32 v67, vcc, 0, v1, vcc
	global_store_dwordx2 v0, v[64:65], s[0:1]
	global_store_dwordx2 v0, v[62:63], s[0:1] offset:2048
	v_add_co_u32_e32 v0, vcc, 0x1000, v66
	v_addc_co_u32_e32 v1, vcc, 0, v67, vcc
	global_store_dwordx2 v[0:1], v[22:23], off
	global_store_dwordx2 v[0:1], v[40:41], off offset:2048
	v_add_co_u32_e32 v0, vcc, 0x2000, v66
	v_addc_co_u32_e32 v1, vcc, 0, v67, vcc
	global_store_dwordx2 v[0:1], v[10:11], off
	global_store_dwordx2 v[0:1], v[8:9], off offset:2048
	;; [unrolled: 4-line block ×15, first 2 shown]
	s_endpgm
	.section	.rodata,"a",@progbits
	.p2align	6, 0x0
	.amdhsa_kernel _Z6kernelI27subtract_right_partial_tileLj256ELj32ELb0EJPdPiS1_jEEvDpT3_
		.amdhsa_group_segment_fixed_size 4096
		.amdhsa_private_segment_fixed_size 0
		.amdhsa_kernarg_size 28
		.amdhsa_user_sgpr_count 6
		.amdhsa_user_sgpr_private_segment_buffer 1
		.amdhsa_user_sgpr_dispatch_ptr 0
		.amdhsa_user_sgpr_queue_ptr 0
		.amdhsa_user_sgpr_kernarg_segment_ptr 1
		.amdhsa_user_sgpr_dispatch_id 0
		.amdhsa_user_sgpr_flat_scratch_init 0
		.amdhsa_user_sgpr_kernarg_preload_length 0
		.amdhsa_user_sgpr_kernarg_preload_offset 0
		.amdhsa_user_sgpr_private_segment_size 0
		.amdhsa_uses_dynamic_stack 0
		.amdhsa_system_sgpr_private_segment_wavefront_offset 0
		.amdhsa_system_sgpr_workgroup_id_x 1
		.amdhsa_system_sgpr_workgroup_id_y 0
		.amdhsa_system_sgpr_workgroup_id_z 0
		.amdhsa_system_sgpr_workgroup_info 0
		.amdhsa_system_vgpr_workitem_id 0
		.amdhsa_next_free_vgpr 164
		.amdhsa_next_free_sgpr 14
		.amdhsa_accum_offset 164
		.amdhsa_reserve_vcc 1
		.amdhsa_reserve_flat_scratch 0
		.amdhsa_float_round_mode_32 0
		.amdhsa_float_round_mode_16_64 0
		.amdhsa_float_denorm_mode_32 3
		.amdhsa_float_denorm_mode_16_64 3
		.amdhsa_dx10_clamp 1
		.amdhsa_ieee_mode 1
		.amdhsa_fp16_overflow 0
		.amdhsa_tg_split 0
		.amdhsa_exception_fp_ieee_invalid_op 0
		.amdhsa_exception_fp_denorm_src 0
		.amdhsa_exception_fp_ieee_div_zero 0
		.amdhsa_exception_fp_ieee_overflow 0
		.amdhsa_exception_fp_ieee_underflow 0
		.amdhsa_exception_fp_ieee_inexact 0
		.amdhsa_exception_int_div_zero 0
	.end_amdhsa_kernel
	.section	.text._Z6kernelI27subtract_right_partial_tileLj256ELj32ELb0EJPdPiS1_jEEvDpT3_,"axG",@progbits,_Z6kernelI27subtract_right_partial_tileLj256ELj32ELb0EJPdPiS1_jEEvDpT3_,comdat
.Lfunc_end209:
	.size	_Z6kernelI27subtract_right_partial_tileLj256ELj32ELb0EJPdPiS1_jEEvDpT3_, .Lfunc_end209-_Z6kernelI27subtract_right_partial_tileLj256ELj32ELb0EJPdPiS1_jEEvDpT3_
                                        ; -- End function
	.section	.AMDGPU.csdata,"",@progbits
; Kernel info:
; codeLenInByte = 2252
; NumSgprs: 18
; NumVgprs: 164
; NumAgprs: 0
; TotalNumVgprs: 164
; ScratchSize: 0
; MemoryBound: 0
; FloatMode: 240
; IeeeMode: 1
; LDSByteSize: 4096 bytes/workgroup (compile time only)
; SGPRBlocks: 2
; VGPRBlocks: 20
; NumSGPRsForWavesPerEU: 18
; NumVGPRsForWavesPerEU: 164
; AccumOffset: 164
; Occupancy: 3
; WaveLimiterHint : 1
; COMPUTE_PGM_RSRC2:SCRATCH_EN: 0
; COMPUTE_PGM_RSRC2:USER_SGPR: 6
; COMPUTE_PGM_RSRC2:TRAP_HANDLER: 0
; COMPUTE_PGM_RSRC2:TGID_X_EN: 1
; COMPUTE_PGM_RSRC2:TGID_Y_EN: 0
; COMPUTE_PGM_RSRC2:TGID_Z_EN: 0
; COMPUTE_PGM_RSRC2:TIDIG_COMP_CNT: 0
; COMPUTE_PGM_RSRC3_GFX90A:ACCUM_OFFSET: 40
; COMPUTE_PGM_RSRC3_GFX90A:TG_SPLIT: 0
	.section	.text._Z6kernelI27subtract_right_partial_tileLj256ELj1ELb1EJPiS1_S1_jEEvDpT3_,"axG",@progbits,_Z6kernelI27subtract_right_partial_tileLj256ELj1ELb1EJPiS1_S1_jEEvDpT3_,comdat
	.protected	_Z6kernelI27subtract_right_partial_tileLj256ELj1ELb1EJPiS1_S1_jEEvDpT3_ ; -- Begin function _Z6kernelI27subtract_right_partial_tileLj256ELj1ELb1EJPiS1_S1_jEEvDpT3_
	.globl	_Z6kernelI27subtract_right_partial_tileLj256ELj1ELb1EJPiS1_S1_jEEvDpT3_
	.p2align	8
	.type	_Z6kernelI27subtract_right_partial_tileLj256ELj1ELb1EJPiS1_S1_jEEvDpT3_,@function
_Z6kernelI27subtract_right_partial_tileLj256ELj1ELb1EJPiS1_S1_jEEvDpT3_: ; @_Z6kernelI27subtract_right_partial_tileLj256ELj1ELb1EJPiS1_S1_jEEvDpT3_
; %bb.0:
	s_load_dwordx4 s[8:11], s[4:5], 0x0
	s_load_dwordx2 s[0:1], s[4:5], 0x10
	s_lshl_b32 s12, s6, 8
	s_mov_b32 s13, 0
	s_lshl_b64 s[2:3], s[12:13], 2
	s_waitcnt lgkmcnt(0)
	s_add_u32 s8, s8, s2
	s_addc_u32 s9, s9, s3
	v_lshlrev_b32_e32 v2, 2, v0
	global_load_dword v1, v2, s[8:9]
	s_load_dword s8, s[4:5], 0x18
	s_mov_b32 s7, s13
	s_lshl_b64 s[4:5], s[6:7], 2
	s_add_u32 s4, s10, s4
	s_addc_u32 s5, s11, s5
	s_waitcnt lgkmcnt(0)
	v_cvt_f32_u32_e32 v3, s8
	s_load_dword s6, s[4:5], 0x0
	s_sub_i32 s4, 0, s8
	v_or_b32_e32 v4, 0x400, v2
	v_rcp_iflag_f32_e32 v3, v3
	v_mul_f32_e32 v3, 0x4f7ffffe, v3
	v_cvt_u32_f32_e32 v3, v3
	v_readfirstlane_b32 s5, v3
	s_mul_i32 s4, s4, s5
	s_mul_hi_u32 s4, s5, s4
	s_add_i32 s5, s5, s4
	s_lshr_b32 s4, s5, 24
	s_mul_i32 s5, s4, s8
	s_sub_i32 s5, 0x100, s5
	s_add_i32 s7, s4, 1
	s_sub_i32 s9, s5, s8
	s_cmp_ge_u32 s5, s8
	s_cselect_b32 s4, s7, s4
	s_cselect_b32 s5, s9, s5
	s_add_i32 s7, s4, 1
	s_cmp_ge_u32 s5, s8
	s_cselect_b32 s7, s7, s4
	s_add_i32 s7, s7, 1
	v_add_u32_e32 v3, 1, v0
	s_max_u32 s8, s8, 1
	s_branch .LBB210_2
.LBB210_1:                              ;   in Loop: Header=BB210_2 Depth=1
	s_or_b64 exec, exec, s[4:5]
	s_add_i32 s4, s7, s6
	s_and_b32 s6, s4, 0xff
	s_add_i32 s8, s8, -1
	v_add_u32_e32 v1, v5, v1
	s_cmp_lg_u32 s8, 0
	s_barrier
	s_cbranch_scc0 .LBB210_4
.LBB210_2:                              ; =>This Inner Loop Header: Depth=1
	s_waitcnt lgkmcnt(0)
	v_cmp_gt_u32_e32 vcc, s6, v3
	s_waitcnt vmcnt(0)
	v_mov_b32_e32 v5, v1
	ds_write_b32 v2, v1 offset:1024
	s_waitcnt lgkmcnt(0)
	s_barrier
	s_and_saveexec_b64 s[4:5], vcc
	s_cbranch_execz .LBB210_1
; %bb.3:                                ;   in Loop: Header=BB210_2 Depth=1
	ds_read_b32 v5, v4 offset:4
	s_waitcnt lgkmcnt(0)
	v_sub_u32_e32 v5, v1, v5
	s_branch .LBB210_1
.LBB210_4:
	s_add_u32 s0, s0, s2
	s_addc_u32 s1, s1, s3
	v_lshlrev_b32_e32 v0, 2, v0
	global_store_dword v0, v1, s[0:1]
	s_endpgm
	.section	.rodata,"a",@progbits
	.p2align	6, 0x0
	.amdhsa_kernel _Z6kernelI27subtract_right_partial_tileLj256ELj1ELb1EJPiS1_S1_jEEvDpT3_
		.amdhsa_group_segment_fixed_size 2048
		.amdhsa_private_segment_fixed_size 0
		.amdhsa_kernarg_size 28
		.amdhsa_user_sgpr_count 6
		.amdhsa_user_sgpr_private_segment_buffer 1
		.amdhsa_user_sgpr_dispatch_ptr 0
		.amdhsa_user_sgpr_queue_ptr 0
		.amdhsa_user_sgpr_kernarg_segment_ptr 1
		.amdhsa_user_sgpr_dispatch_id 0
		.amdhsa_user_sgpr_flat_scratch_init 0
		.amdhsa_user_sgpr_kernarg_preload_length 0
		.amdhsa_user_sgpr_kernarg_preload_offset 0
		.amdhsa_user_sgpr_private_segment_size 0
		.amdhsa_uses_dynamic_stack 0
		.amdhsa_system_sgpr_private_segment_wavefront_offset 0
		.amdhsa_system_sgpr_workgroup_id_x 1
		.amdhsa_system_sgpr_workgroup_id_y 0
		.amdhsa_system_sgpr_workgroup_id_z 0
		.amdhsa_system_sgpr_workgroup_info 0
		.amdhsa_system_vgpr_workitem_id 0
		.amdhsa_next_free_vgpr 6
		.amdhsa_next_free_sgpr 14
		.amdhsa_accum_offset 8
		.amdhsa_reserve_vcc 1
		.amdhsa_reserve_flat_scratch 0
		.amdhsa_float_round_mode_32 0
		.amdhsa_float_round_mode_16_64 0
		.amdhsa_float_denorm_mode_32 3
		.amdhsa_float_denorm_mode_16_64 3
		.amdhsa_dx10_clamp 1
		.amdhsa_ieee_mode 1
		.amdhsa_fp16_overflow 0
		.amdhsa_tg_split 0
		.amdhsa_exception_fp_ieee_invalid_op 0
		.amdhsa_exception_fp_denorm_src 0
		.amdhsa_exception_fp_ieee_div_zero 0
		.amdhsa_exception_fp_ieee_overflow 0
		.amdhsa_exception_fp_ieee_underflow 0
		.amdhsa_exception_fp_ieee_inexact 0
		.amdhsa_exception_int_div_zero 0
	.end_amdhsa_kernel
	.section	.text._Z6kernelI27subtract_right_partial_tileLj256ELj1ELb1EJPiS1_S1_jEEvDpT3_,"axG",@progbits,_Z6kernelI27subtract_right_partial_tileLj256ELj1ELb1EJPiS1_S1_jEEvDpT3_,comdat
.Lfunc_end210:
	.size	_Z6kernelI27subtract_right_partial_tileLj256ELj1ELb1EJPiS1_S1_jEEvDpT3_, .Lfunc_end210-_Z6kernelI27subtract_right_partial_tileLj256ELj1ELb1EJPiS1_S1_jEEvDpT3_
                                        ; -- End function
	.section	.AMDGPU.csdata,"",@progbits
; Kernel info:
; codeLenInByte = 320
; NumSgprs: 18
; NumVgprs: 6
; NumAgprs: 0
; TotalNumVgprs: 6
; ScratchSize: 0
; MemoryBound: 0
; FloatMode: 240
; IeeeMode: 1
; LDSByteSize: 2048 bytes/workgroup (compile time only)
; SGPRBlocks: 2
; VGPRBlocks: 0
; NumSGPRsForWavesPerEU: 18
; NumVGPRsForWavesPerEU: 6
; AccumOffset: 8
; Occupancy: 8
; WaveLimiterHint : 0
; COMPUTE_PGM_RSRC2:SCRATCH_EN: 0
; COMPUTE_PGM_RSRC2:USER_SGPR: 6
; COMPUTE_PGM_RSRC2:TRAP_HANDLER: 0
; COMPUTE_PGM_RSRC2:TGID_X_EN: 1
; COMPUTE_PGM_RSRC2:TGID_Y_EN: 0
; COMPUTE_PGM_RSRC2:TGID_Z_EN: 0
; COMPUTE_PGM_RSRC2:TIDIG_COMP_CNT: 0
; COMPUTE_PGM_RSRC3_GFX90A:ACCUM_OFFSET: 1
; COMPUTE_PGM_RSRC3_GFX90A:TG_SPLIT: 0
	.section	.text._Z6kernelI27subtract_right_partial_tileLj256ELj3ELb1EJPiS1_S1_jEEvDpT3_,"axG",@progbits,_Z6kernelI27subtract_right_partial_tileLj256ELj3ELb1EJPiS1_S1_jEEvDpT3_,comdat
	.protected	_Z6kernelI27subtract_right_partial_tileLj256ELj3ELb1EJPiS1_S1_jEEvDpT3_ ; -- Begin function _Z6kernelI27subtract_right_partial_tileLj256ELj3ELb1EJPiS1_S1_jEEvDpT3_
	.globl	_Z6kernelI27subtract_right_partial_tileLj256ELj3ELb1EJPiS1_S1_jEEvDpT3_
	.p2align	8
	.type	_Z6kernelI27subtract_right_partial_tileLj256ELj3ELb1EJPiS1_S1_jEEvDpT3_,@function
_Z6kernelI27subtract_right_partial_tileLj256ELj3ELb1EJPiS1_S1_jEEvDpT3_: ; @_Z6kernelI27subtract_right_partial_tileLj256ELj3ELb1EJPiS1_S1_jEEvDpT3_
; %bb.0:
	s_load_dwordx4 s[8:11], s[4:5], 0x0
	s_load_dwordx2 s[0:1], s[4:5], 0x10
	s_mul_i32 s12, s6, 0x300
	s_mov_b32 s13, 0
	s_lshl_b64 s[2:3], s[12:13], 2
	s_waitcnt lgkmcnt(0)
	s_add_u32 s8, s8, s2
	s_addc_u32 s9, s9, s3
	v_lshlrev_b32_e32 v4, 2, v0
	global_load_dword v1, v4, s[8:9]
	global_load_dword v2, v4, s[8:9] offset:1024
	global_load_dword v3, v4, s[8:9] offset:2048
	s_load_dword s8, s[4:5], 0x18
	s_mov_b32 s7, s13
	s_lshl_b64 s[4:5], s[6:7], 2
	s_add_u32 s4, s10, s4
	s_addc_u32 s5, s11, s5
	s_waitcnt lgkmcnt(0)
	v_cvt_f32_u32_e32 v5, s8
	s_load_dword s6, s[4:5], 0x0
	s_sub_i32 s4, 0, s8
	v_mad_u32_u24 v6, v0, 3, 2
	v_rcp_iflag_f32_e32 v5, v5
	v_mad_u32_u24 v7, v0, 3, 3
	v_or_b32_e32 v8, 0x400, v4
	v_mul_f32_e32 v5, 0x4f7ffffe, v5
	v_cvt_u32_f32_e32 v5, v5
	v_readfirstlane_b32 s5, v5
	s_mul_i32 s4, s4, s5
	s_mul_hi_u32 s4, s5, s4
	s_add_i32 s5, s5, s4
	s_mul_hi_u32 s4, s5, 0x300
	s_mul_i32 s5, s4, s8
	s_sub_i32 s5, 0x300, s5
	s_add_i32 s7, s4, 1
	s_sub_i32 s9, s5, s8
	s_cmp_ge_u32 s5, s8
	s_cselect_b32 s4, s7, s4
	s_cselect_b32 s5, s9, s5
	s_add_i32 s7, s4, 1
	s_cmp_ge_u32 s5, s8
	s_cselect_b32 s7, s7, s4
	s_add_i32 s7, s7, 1
	v_mad_u32_u24 v5, v0, 3, 1
	s_max_u32 s8, s8, 1
	s_branch .LBB211_2
.LBB211_1:                              ;   in Loop: Header=BB211_2 Depth=1
	s_or_b64 exec, exec, s[4:5]
	s_add_i32 s4, s7, s6
	s_mul_hi_u32 s5, s4, 0xaaaaaaab
	s_lshr_b32 s5, s5, 9
	s_mulk_i32 s5, 0x300
	s_sub_i32 s6, s4, s5
	s_add_i32 s8, s8, -1
	v_add_u32_e32 v1, v9, v1
	v_add_u32_e32 v2, v10, v2
	;; [unrolled: 1-line block ×3, first 2 shown]
	s_cmp_lg_u32 s8, 0
	s_barrier
	s_cbranch_scc0 .LBB211_4
.LBB211_2:                              ; =>This Inner Loop Header: Depth=1
	s_waitcnt vmcnt(1)
	v_sub_u32_e32 v9, v1, v2
	s_waitcnt lgkmcnt(0)
	v_cmp_gt_u32_e32 vcc, s6, v5
	v_cndmask_b32_e32 v9, v1, v9, vcc
	s_waitcnt vmcnt(0)
	v_sub_u32_e32 v10, v2, v3
	v_cmp_gt_u32_e32 vcc, s6, v6
	v_cndmask_b32_e32 v10, v2, v10, vcc
	v_cmp_gt_u32_e32 vcc, s6, v7
	v_mov_b32_e32 v11, v3
	ds_write_b32 v4, v1 offset:1024
	s_waitcnt lgkmcnt(0)
	s_barrier
	s_and_saveexec_b64 s[4:5], vcc
	s_cbranch_execz .LBB211_1
; %bb.3:                                ;   in Loop: Header=BB211_2 Depth=1
	ds_read_b32 v11, v8 offset:4
	s_waitcnt lgkmcnt(0)
	v_sub_u32_e32 v11, v3, v11
	s_branch .LBB211_1
.LBB211_4:
	s_add_u32 s0, s0, s2
	s_addc_u32 s1, s1, s3
	v_lshlrev_b32_e32 v0, 2, v0
	global_store_dword v0, v1, s[0:1]
	global_store_dword v0, v2, s[0:1] offset:1024
	global_store_dword v0, v3, s[0:1] offset:2048
	s_endpgm
	.section	.rodata,"a",@progbits
	.p2align	6, 0x0
	.amdhsa_kernel _Z6kernelI27subtract_right_partial_tileLj256ELj3ELb1EJPiS1_S1_jEEvDpT3_
		.amdhsa_group_segment_fixed_size 2048
		.amdhsa_private_segment_fixed_size 0
		.amdhsa_kernarg_size 28
		.amdhsa_user_sgpr_count 6
		.amdhsa_user_sgpr_private_segment_buffer 1
		.amdhsa_user_sgpr_dispatch_ptr 0
		.amdhsa_user_sgpr_queue_ptr 0
		.amdhsa_user_sgpr_kernarg_segment_ptr 1
		.amdhsa_user_sgpr_dispatch_id 0
		.amdhsa_user_sgpr_flat_scratch_init 0
		.amdhsa_user_sgpr_kernarg_preload_length 0
		.amdhsa_user_sgpr_kernarg_preload_offset 0
		.amdhsa_user_sgpr_private_segment_size 0
		.amdhsa_uses_dynamic_stack 0
		.amdhsa_system_sgpr_private_segment_wavefront_offset 0
		.amdhsa_system_sgpr_workgroup_id_x 1
		.amdhsa_system_sgpr_workgroup_id_y 0
		.amdhsa_system_sgpr_workgroup_id_z 0
		.amdhsa_system_sgpr_workgroup_info 0
		.amdhsa_system_vgpr_workitem_id 0
		.amdhsa_next_free_vgpr 12
		.amdhsa_next_free_sgpr 14
		.amdhsa_accum_offset 12
		.amdhsa_reserve_vcc 1
		.amdhsa_reserve_flat_scratch 0
		.amdhsa_float_round_mode_32 0
		.amdhsa_float_round_mode_16_64 0
		.amdhsa_float_denorm_mode_32 3
		.amdhsa_float_denorm_mode_16_64 3
		.amdhsa_dx10_clamp 1
		.amdhsa_ieee_mode 1
		.amdhsa_fp16_overflow 0
		.amdhsa_tg_split 0
		.amdhsa_exception_fp_ieee_invalid_op 0
		.amdhsa_exception_fp_denorm_src 0
		.amdhsa_exception_fp_ieee_div_zero 0
		.amdhsa_exception_fp_ieee_overflow 0
		.amdhsa_exception_fp_ieee_underflow 0
		.amdhsa_exception_fp_ieee_inexact 0
		.amdhsa_exception_int_div_zero 0
	.end_amdhsa_kernel
	.section	.text._Z6kernelI27subtract_right_partial_tileLj256ELj3ELb1EJPiS1_S1_jEEvDpT3_,"axG",@progbits,_Z6kernelI27subtract_right_partial_tileLj256ELj3ELb1EJPiS1_S1_jEEvDpT3_,comdat
.Lfunc_end211:
	.size	_Z6kernelI27subtract_right_partial_tileLj256ELj3ELb1EJPiS1_S1_jEEvDpT3_, .Lfunc_end211-_Z6kernelI27subtract_right_partial_tileLj256ELj3ELb1EJPiS1_S1_jEEvDpT3_
                                        ; -- End function
	.section	.AMDGPU.csdata,"",@progbits
; Kernel info:
; codeLenInByte = 428
; NumSgprs: 18
; NumVgprs: 12
; NumAgprs: 0
; TotalNumVgprs: 12
; ScratchSize: 0
; MemoryBound: 0
; FloatMode: 240
; IeeeMode: 1
; LDSByteSize: 2048 bytes/workgroup (compile time only)
; SGPRBlocks: 2
; VGPRBlocks: 1
; NumSGPRsForWavesPerEU: 18
; NumVGPRsForWavesPerEU: 12
; AccumOffset: 12
; Occupancy: 8
; WaveLimiterHint : 1
; COMPUTE_PGM_RSRC2:SCRATCH_EN: 0
; COMPUTE_PGM_RSRC2:USER_SGPR: 6
; COMPUTE_PGM_RSRC2:TRAP_HANDLER: 0
; COMPUTE_PGM_RSRC2:TGID_X_EN: 1
; COMPUTE_PGM_RSRC2:TGID_Y_EN: 0
; COMPUTE_PGM_RSRC2:TGID_Z_EN: 0
; COMPUTE_PGM_RSRC2:TIDIG_COMP_CNT: 0
; COMPUTE_PGM_RSRC3_GFX90A:ACCUM_OFFSET: 2
; COMPUTE_PGM_RSRC3_GFX90A:TG_SPLIT: 0
	.section	.text._Z6kernelI27subtract_right_partial_tileLj256ELj4ELb1EJPiS1_S1_jEEvDpT3_,"axG",@progbits,_Z6kernelI27subtract_right_partial_tileLj256ELj4ELb1EJPiS1_S1_jEEvDpT3_,comdat
	.protected	_Z6kernelI27subtract_right_partial_tileLj256ELj4ELb1EJPiS1_S1_jEEvDpT3_ ; -- Begin function _Z6kernelI27subtract_right_partial_tileLj256ELj4ELb1EJPiS1_S1_jEEvDpT3_
	.globl	_Z6kernelI27subtract_right_partial_tileLj256ELj4ELb1EJPiS1_S1_jEEvDpT3_
	.p2align	8
	.type	_Z6kernelI27subtract_right_partial_tileLj256ELj4ELb1EJPiS1_S1_jEEvDpT3_,@function
_Z6kernelI27subtract_right_partial_tileLj256ELj4ELb1EJPiS1_S1_jEEvDpT3_: ; @_Z6kernelI27subtract_right_partial_tileLj256ELj4ELb1EJPiS1_S1_jEEvDpT3_
; %bb.0:
	s_load_dwordx4 s[8:11], s[4:5], 0x0
	s_load_dwordx2 s[0:1], s[4:5], 0x10
	s_lshl_b32 s12, s6, 10
	s_mov_b32 s13, 0
	s_lshl_b64 s[2:3], s[12:13], 2
	s_waitcnt lgkmcnt(0)
	s_add_u32 s8, s8, s2
	s_addc_u32 s9, s9, s3
	v_lshlrev_b32_e32 v5, 2, v0
	global_load_dword v1, v5, s[8:9]
	global_load_dword v2, v5, s[8:9] offset:1024
	global_load_dword v3, v5, s[8:9] offset:2048
	global_load_dword v4, v5, s[8:9] offset:3072
	s_load_dword s8, s[4:5], 0x18
	s_mov_b32 s7, s13
	s_lshl_b64 s[4:5], s[6:7], 2
	s_add_u32 s4, s10, s4
	s_addc_u32 s5, s11, s5
	s_waitcnt lgkmcnt(0)
	v_cvt_f32_u32_e32 v6, s8
	s_load_dword s6, s[4:5], 0x0
	s_sub_i32 s4, 0, s8
	v_or_b32_e32 v7, 2, v5
	v_rcp_iflag_f32_e32 v6, v6
	v_or_b32_e32 v8, 3, v5
	v_add_u32_e32 v9, 4, v5
	v_or_b32_e32 v10, 0x400, v5
	v_mul_f32_e32 v6, 0x4f7ffffe, v6
	v_cvt_u32_f32_e32 v6, v6
	v_readfirstlane_b32 s5, v6
	s_mul_i32 s4, s4, s5
	s_mul_hi_u32 s4, s5, s4
	s_add_i32 s5, s5, s4
	s_lshr_b32 s4, s5, 22
	s_mul_i32 s5, s4, s8
	s_sub_i32 s5, 0x400, s5
	s_add_i32 s7, s4, 1
	s_sub_i32 s9, s5, s8
	s_cmp_ge_u32 s5, s8
	s_cselect_b32 s4, s7, s4
	s_cselect_b32 s5, s9, s5
	s_add_i32 s7, s4, 1
	s_cmp_ge_u32 s5, s8
	s_cselect_b32 s7, s7, s4
	s_add_i32 s7, s7, 1
	v_or_b32_e32 v6, 1, v5
	s_max_u32 s8, s8, 1
	s_branch .LBB212_2
.LBB212_1:                              ;   in Loop: Header=BB212_2 Depth=1
	s_or_b64 exec, exec, s[4:5]
	s_add_i32 s4, s7, s6
	s_and_b32 s6, s4, 0x3ff
	s_add_i32 s8, s8, -1
	v_add_u32_e32 v1, v11, v1
	v_add_u32_e32 v2, v12, v2
	;; [unrolled: 1-line block ×4, first 2 shown]
	s_cmp_lg_u32 s8, 0
	s_barrier
	s_cbranch_scc0 .LBB212_4
.LBB212_2:                              ; =>This Inner Loop Header: Depth=1
	s_waitcnt vmcnt(2)
	v_sub_u32_e32 v11, v1, v2
	s_waitcnt lgkmcnt(0)
	v_cmp_gt_u32_e32 vcc, s6, v6
	v_cndmask_b32_e32 v11, v1, v11, vcc
	s_waitcnt vmcnt(1)
	v_sub_u32_e32 v12, v2, v3
	v_cmp_gt_u32_e32 vcc, s6, v7
	v_cndmask_b32_e32 v12, v2, v12, vcc
	s_waitcnt vmcnt(0)
	v_sub_u32_e32 v13, v3, v4
	v_cmp_gt_u32_e32 vcc, s6, v8
	v_cndmask_b32_e32 v13, v3, v13, vcc
	v_cmp_gt_u32_e32 vcc, s6, v9
	v_mov_b32_e32 v14, v4
	ds_write_b32 v5, v1 offset:1024
	s_waitcnt lgkmcnt(0)
	s_barrier
	s_and_saveexec_b64 s[4:5], vcc
	s_cbranch_execz .LBB212_1
; %bb.3:                                ;   in Loop: Header=BB212_2 Depth=1
	ds_read_b32 v14, v10 offset:4
	s_waitcnt lgkmcnt(0)
	v_sub_u32_e32 v14, v4, v14
	s_branch .LBB212_1
.LBB212_4:
	s_add_u32 s0, s0, s2
	s_addc_u32 s1, s1, s3
	v_lshlrev_b32_e32 v0, 2, v0
	global_store_dword v0, v1, s[0:1]
	global_store_dword v0, v2, s[0:1] offset:1024
	global_store_dword v0, v3, s[0:1] offset:2048
	;; [unrolled: 1-line block ×3, first 2 shown]
	s_endpgm
	.section	.rodata,"a",@progbits
	.p2align	6, 0x0
	.amdhsa_kernel _Z6kernelI27subtract_right_partial_tileLj256ELj4ELb1EJPiS1_S1_jEEvDpT3_
		.amdhsa_group_segment_fixed_size 2048
		.amdhsa_private_segment_fixed_size 0
		.amdhsa_kernarg_size 28
		.amdhsa_user_sgpr_count 6
		.amdhsa_user_sgpr_private_segment_buffer 1
		.amdhsa_user_sgpr_dispatch_ptr 0
		.amdhsa_user_sgpr_queue_ptr 0
		.amdhsa_user_sgpr_kernarg_segment_ptr 1
		.amdhsa_user_sgpr_dispatch_id 0
		.amdhsa_user_sgpr_flat_scratch_init 0
		.amdhsa_user_sgpr_kernarg_preload_length 0
		.amdhsa_user_sgpr_kernarg_preload_offset 0
		.amdhsa_user_sgpr_private_segment_size 0
		.amdhsa_uses_dynamic_stack 0
		.amdhsa_system_sgpr_private_segment_wavefront_offset 0
		.amdhsa_system_sgpr_workgroup_id_x 1
		.amdhsa_system_sgpr_workgroup_id_y 0
		.amdhsa_system_sgpr_workgroup_id_z 0
		.amdhsa_system_sgpr_workgroup_info 0
		.amdhsa_system_vgpr_workitem_id 0
		.amdhsa_next_free_vgpr 15
		.amdhsa_next_free_sgpr 14
		.amdhsa_accum_offset 16
		.amdhsa_reserve_vcc 1
		.amdhsa_reserve_flat_scratch 0
		.amdhsa_float_round_mode_32 0
		.amdhsa_float_round_mode_16_64 0
		.amdhsa_float_denorm_mode_32 3
		.amdhsa_float_denorm_mode_16_64 3
		.amdhsa_dx10_clamp 1
		.amdhsa_ieee_mode 1
		.amdhsa_fp16_overflow 0
		.amdhsa_tg_split 0
		.amdhsa_exception_fp_ieee_invalid_op 0
		.amdhsa_exception_fp_denorm_src 0
		.amdhsa_exception_fp_ieee_div_zero 0
		.amdhsa_exception_fp_ieee_overflow 0
		.amdhsa_exception_fp_ieee_underflow 0
		.amdhsa_exception_fp_ieee_inexact 0
		.amdhsa_exception_int_div_zero 0
	.end_amdhsa_kernel
	.section	.text._Z6kernelI27subtract_right_partial_tileLj256ELj4ELb1EJPiS1_S1_jEEvDpT3_,"axG",@progbits,_Z6kernelI27subtract_right_partial_tileLj256ELj4ELb1EJPiS1_S1_jEEvDpT3_,comdat
.Lfunc_end212:
	.size	_Z6kernelI27subtract_right_partial_tileLj256ELj4ELb1EJPiS1_S1_jEEvDpT3_, .Lfunc_end212-_Z6kernelI27subtract_right_partial_tileLj256ELj4ELb1EJPiS1_S1_jEEvDpT3_
                                        ; -- End function
	.section	.AMDGPU.csdata,"",@progbits
; Kernel info:
; codeLenInByte = 436
; NumSgprs: 18
; NumVgprs: 15
; NumAgprs: 0
; TotalNumVgprs: 15
; ScratchSize: 0
; MemoryBound: 0
; FloatMode: 240
; IeeeMode: 1
; LDSByteSize: 2048 bytes/workgroup (compile time only)
; SGPRBlocks: 2
; VGPRBlocks: 1
; NumSGPRsForWavesPerEU: 18
; NumVGPRsForWavesPerEU: 15
; AccumOffset: 16
; Occupancy: 8
; WaveLimiterHint : 1
; COMPUTE_PGM_RSRC2:SCRATCH_EN: 0
; COMPUTE_PGM_RSRC2:USER_SGPR: 6
; COMPUTE_PGM_RSRC2:TRAP_HANDLER: 0
; COMPUTE_PGM_RSRC2:TGID_X_EN: 1
; COMPUTE_PGM_RSRC2:TGID_Y_EN: 0
; COMPUTE_PGM_RSRC2:TGID_Z_EN: 0
; COMPUTE_PGM_RSRC2:TIDIG_COMP_CNT: 0
; COMPUTE_PGM_RSRC3_GFX90A:ACCUM_OFFSET: 3
; COMPUTE_PGM_RSRC3_GFX90A:TG_SPLIT: 0
	.section	.text._Z6kernelI27subtract_right_partial_tileLj256ELj8ELb1EJPiS1_S1_jEEvDpT3_,"axG",@progbits,_Z6kernelI27subtract_right_partial_tileLj256ELj8ELb1EJPiS1_S1_jEEvDpT3_,comdat
	.protected	_Z6kernelI27subtract_right_partial_tileLj256ELj8ELb1EJPiS1_S1_jEEvDpT3_ ; -- Begin function _Z6kernelI27subtract_right_partial_tileLj256ELj8ELb1EJPiS1_S1_jEEvDpT3_
	.globl	_Z6kernelI27subtract_right_partial_tileLj256ELj8ELb1EJPiS1_S1_jEEvDpT3_
	.p2align	8
	.type	_Z6kernelI27subtract_right_partial_tileLj256ELj8ELb1EJPiS1_S1_jEEvDpT3_,@function
_Z6kernelI27subtract_right_partial_tileLj256ELj8ELb1EJPiS1_S1_jEEvDpT3_: ; @_Z6kernelI27subtract_right_partial_tileLj256ELj8ELb1EJPiS1_S1_jEEvDpT3_
; %bb.0:
	s_load_dwordx4 s[0:3], s[4:5], 0x0
	s_load_dwordx2 s[8:9], s[4:5], 0x10
	s_lshl_b32 s12, s6, 11
	s_mov_b32 s13, 0
	s_lshl_b64 s[10:11], s[12:13], 2
	s_waitcnt lgkmcnt(0)
	s_add_u32 s0, s0, s10
	s_addc_u32 s1, s1, s11
	v_lshlrev_b32_e32 v9, 2, v0
	v_mov_b32_e32 v1, s1
	v_add_co_u32_e32 v5, vcc, s0, v9
	v_addc_co_u32_e32 v6, vcc, 0, v1, vcc
	global_load_dword v1, v9, s[0:1]
	global_load_dword v2, v9, s[0:1] offset:1024
	global_load_dword v3, v9, s[0:1] offset:2048
	global_load_dword v4, v9, s[0:1] offset:3072
	s_movk_i32 s0, 0x1000
	v_add_co_u32_e32 v10, vcc, s0, v5
	v_addc_co_u32_e32 v11, vcc, 0, v6, vcc
	global_load_dword v5, v[10:11], off
	global_load_dword v6, v[10:11], off offset:1024
	global_load_dword v7, v[10:11], off offset:2048
	;; [unrolled: 1-line block ×3, first 2 shown]
	s_load_dword s4, s[4:5], 0x18
	s_mov_b32 s7, s13
	s_lshl_b64 s[0:1], s[6:7], 2
	s_add_u32 s0, s2, s0
	s_addc_u32 s1, s3, s1
	s_waitcnt lgkmcnt(0)
	v_cvt_f32_u32_e32 v10, s4
	s_load_dword s2, s[0:1], 0x0
	s_sub_i32 s0, 0, s4
	v_lshlrev_b32_e32 v17, 3, v0
	v_rcp_iflag_f32_e32 v10, v10
	v_or_b32_e32 v11, 2, v17
	v_or_b32_e32 v12, 3, v17
	;; [unrolled: 1-line block ×3, first 2 shown]
	v_mul_f32_e32 v10, 0x4f7ffffe, v10
	v_cvt_u32_f32_e32 v10, v10
	v_or_b32_e32 v14, 5, v17
	v_or_b32_e32 v15, 6, v17
	;; [unrolled: 1-line block ×3, first 2 shown]
	v_readfirstlane_b32 s1, v10
	s_mul_i32 s0, s0, s1
	s_mul_hi_u32 s0, s1, s0
	s_add_i32 s1, s1, s0
	s_lshr_b32 s0, s1, 21
	s_mul_i32 s1, s0, s4
	s_sub_i32 s1, 0x800, s1
	s_add_i32 s3, s0, 1
	s_sub_i32 s5, s1, s4
	s_cmp_ge_u32 s1, s4
	s_cselect_b32 s0, s3, s0
	s_cselect_b32 s1, s5, s1
	s_add_i32 s3, s0, 1
	s_cmp_ge_u32 s1, s4
	s_cselect_b32 s3, s3, s0
	s_add_i32 s3, s3, 1
	v_or_b32_e32 v10, 1, v17
	v_add_u32_e32 v17, 8, v17
	v_or_b32_e32 v18, 0x400, v9
	s_max_u32 s4, s4, 1
	s_branch .LBB213_2
.LBB213_1:                              ;   in Loop: Header=BB213_2 Depth=1
	s_or_b64 exec, exec, s[0:1]
	v_cmp_gt_u32_e32 vcc, s2, v10
	v_cndmask_b32_e32 v20, 0, v2, vcc
	v_cmp_gt_u32_e32 vcc, s2, v11
	v_cndmask_b32_e32 v21, 0, v3, vcc
	;; [unrolled: 2-line block ×7, first 2 shown]
	s_add_i32 s0, s3, s2
	v_sub_u32_e32 v20, v1, v20
	v_sub_u32_e32 v21, v2, v21
	;; [unrolled: 1-line block ×7, first 2 shown]
	s_and_b32 s2, s0, 0x7ff
	s_add_i32 s4, s4, -1
	v_add_u32_e32 v1, v20, v1
	v_add_u32_e32 v2, v21, v2
	;; [unrolled: 1-line block ×8, first 2 shown]
	s_cmp_lg_u32 s4, 0
	s_barrier
	s_cbranch_scc0 .LBB213_4
.LBB213_2:                              ; =>This Inner Loop Header: Depth=1
	s_waitcnt lgkmcnt(0)
	v_cmp_gt_u32_e32 vcc, s2, v17
	s_waitcnt vmcnt(0)
	v_mov_b32_e32 v19, v8
	ds_write_b32 v9, v1 offset:1024
	s_waitcnt lgkmcnt(0)
	s_barrier
	s_and_saveexec_b64 s[0:1], vcc
	s_cbranch_execz .LBB213_1
; %bb.3:                                ;   in Loop: Header=BB213_2 Depth=1
	ds_read_b32 v19, v18 offset:4
	s_waitcnt lgkmcnt(0)
	v_sub_u32_e32 v19, v8, v19
	s_branch .LBB213_1
.LBB213_4:
	s_add_u32 s0, s8, s10
	s_addc_u32 s1, s9, s11
	v_lshlrev_b32_e32 v0, 2, v0
	v_mov_b32_e32 v9, s1
	v_add_co_u32_e32 v10, vcc, s0, v0
	v_addc_co_u32_e32 v9, vcc, 0, v9, vcc
	global_store_dword v0, v1, s[0:1]
	global_store_dword v0, v2, s[0:1] offset:1024
	global_store_dword v0, v3, s[0:1] offset:2048
	;; [unrolled: 1-line block ×3, first 2 shown]
	v_add_co_u32_e32 v0, vcc, 0x1000, v10
	v_addc_co_u32_e32 v1, vcc, 0, v9, vcc
	global_store_dword v[0:1], v5, off
	global_store_dword v[0:1], v6, off offset:1024
	global_store_dword v[0:1], v7, off offset:2048
	global_store_dword v[0:1], v8, off offset:3072
	s_endpgm
	.section	.rodata,"a",@progbits
	.p2align	6, 0x0
	.amdhsa_kernel _Z6kernelI27subtract_right_partial_tileLj256ELj8ELb1EJPiS1_S1_jEEvDpT3_
		.amdhsa_group_segment_fixed_size 2048
		.amdhsa_private_segment_fixed_size 0
		.amdhsa_kernarg_size 28
		.amdhsa_user_sgpr_count 6
		.amdhsa_user_sgpr_private_segment_buffer 1
		.amdhsa_user_sgpr_dispatch_ptr 0
		.amdhsa_user_sgpr_queue_ptr 0
		.amdhsa_user_sgpr_kernarg_segment_ptr 1
		.amdhsa_user_sgpr_dispatch_id 0
		.amdhsa_user_sgpr_flat_scratch_init 0
		.amdhsa_user_sgpr_kernarg_preload_length 0
		.amdhsa_user_sgpr_kernarg_preload_offset 0
		.amdhsa_user_sgpr_private_segment_size 0
		.amdhsa_uses_dynamic_stack 0
		.amdhsa_system_sgpr_private_segment_wavefront_offset 0
		.amdhsa_system_sgpr_workgroup_id_x 1
		.amdhsa_system_sgpr_workgroup_id_y 0
		.amdhsa_system_sgpr_workgroup_id_z 0
		.amdhsa_system_sgpr_workgroup_info 0
		.amdhsa_system_vgpr_workitem_id 0
		.amdhsa_next_free_vgpr 27
		.amdhsa_next_free_sgpr 14
		.amdhsa_accum_offset 28
		.amdhsa_reserve_vcc 1
		.amdhsa_reserve_flat_scratch 0
		.amdhsa_float_round_mode_32 0
		.amdhsa_float_round_mode_16_64 0
		.amdhsa_float_denorm_mode_32 3
		.amdhsa_float_denorm_mode_16_64 3
		.amdhsa_dx10_clamp 1
		.amdhsa_ieee_mode 1
		.amdhsa_fp16_overflow 0
		.amdhsa_tg_split 0
		.amdhsa_exception_fp_ieee_invalid_op 0
		.amdhsa_exception_fp_denorm_src 0
		.amdhsa_exception_fp_ieee_div_zero 0
		.amdhsa_exception_fp_ieee_overflow 0
		.amdhsa_exception_fp_ieee_underflow 0
		.amdhsa_exception_fp_ieee_inexact 0
		.amdhsa_exception_int_div_zero 0
	.end_amdhsa_kernel
	.section	.text._Z6kernelI27subtract_right_partial_tileLj256ELj8ELb1EJPiS1_S1_jEEvDpT3_,"axG",@progbits,_Z6kernelI27subtract_right_partial_tileLj256ELj8ELb1EJPiS1_S1_jEEvDpT3_,comdat
.Lfunc_end213:
	.size	_Z6kernelI27subtract_right_partial_tileLj256ELj8ELb1EJPiS1_S1_jEEvDpT3_, .Lfunc_end213-_Z6kernelI27subtract_right_partial_tileLj256ELj8ELb1EJPiS1_S1_jEEvDpT3_
                                        ; -- End function
	.section	.AMDGPU.csdata,"",@progbits
; Kernel info:
; codeLenInByte = 624
; NumSgprs: 18
; NumVgprs: 27
; NumAgprs: 0
; TotalNumVgprs: 27
; ScratchSize: 0
; MemoryBound: 0
; FloatMode: 240
; IeeeMode: 1
; LDSByteSize: 2048 bytes/workgroup (compile time only)
; SGPRBlocks: 2
; VGPRBlocks: 3
; NumSGPRsForWavesPerEU: 18
; NumVGPRsForWavesPerEU: 27
; AccumOffset: 28
; Occupancy: 8
; WaveLimiterHint : 1
; COMPUTE_PGM_RSRC2:SCRATCH_EN: 0
; COMPUTE_PGM_RSRC2:USER_SGPR: 6
; COMPUTE_PGM_RSRC2:TRAP_HANDLER: 0
; COMPUTE_PGM_RSRC2:TGID_X_EN: 1
; COMPUTE_PGM_RSRC2:TGID_Y_EN: 0
; COMPUTE_PGM_RSRC2:TGID_Z_EN: 0
; COMPUTE_PGM_RSRC2:TIDIG_COMP_CNT: 0
; COMPUTE_PGM_RSRC3_GFX90A:ACCUM_OFFSET: 6
; COMPUTE_PGM_RSRC3_GFX90A:TG_SPLIT: 0
	.section	.text._Z6kernelI27subtract_right_partial_tileLj256ELj16ELb1EJPiS1_S1_jEEvDpT3_,"axG",@progbits,_Z6kernelI27subtract_right_partial_tileLj256ELj16ELb1EJPiS1_S1_jEEvDpT3_,comdat
	.protected	_Z6kernelI27subtract_right_partial_tileLj256ELj16ELb1EJPiS1_S1_jEEvDpT3_ ; -- Begin function _Z6kernelI27subtract_right_partial_tileLj256ELj16ELb1EJPiS1_S1_jEEvDpT3_
	.globl	_Z6kernelI27subtract_right_partial_tileLj256ELj16ELb1EJPiS1_S1_jEEvDpT3_
	.p2align	8
	.type	_Z6kernelI27subtract_right_partial_tileLj256ELj16ELb1EJPiS1_S1_jEEvDpT3_,@function
_Z6kernelI27subtract_right_partial_tileLj256ELj16ELb1EJPiS1_S1_jEEvDpT3_: ; @_Z6kernelI27subtract_right_partial_tileLj256ELj16ELb1EJPiS1_S1_jEEvDpT3_
; %bb.0:
	s_load_dwordx4 s[0:3], s[4:5], 0x0
	s_load_dwordx2 s[8:9], s[4:5], 0x10
	s_lshl_b32 s12, s6, 12
	s_mov_b32 s13, 0
	s_lshl_b64 s[10:11], s[12:13], 2
	s_waitcnt lgkmcnt(0)
	s_add_u32 s0, s0, s10
	s_addc_u32 s1, s1, s11
	v_lshlrev_b32_e32 v13, 2, v0
	v_mov_b32_e32 v1, s1
	v_add_co_u32_e32 v9, vcc, s0, v13
	v_addc_co_u32_e32 v12, vcc, 0, v1, vcc
	global_load_dword v4, v13, s[0:1]
	global_load_dword v3, v13, s[0:1] offset:1024
	global_load_dword v2, v13, s[0:1] offset:2048
	;; [unrolled: 1-line block ×3, first 2 shown]
	s_movk_i32 s0, 0x1000
	v_add_co_u32_e32 v18, vcc, s0, v9
	v_addc_co_u32_e32 v19, vcc, 0, v12, vcc
	s_movk_i32 s0, 0x2000
	v_add_co_u32_e32 v10, vcc, s0, v9
	v_addc_co_u32_e32 v11, vcc, 0, v12, vcc
	s_movk_i32 s0, 0x3000
	v_add_co_u32_e32 v20, vcc, s0, v9
	global_load_dword v14, v[10:11], off offset:-4096
	global_load_dword v8, v[10:11], off
	global_load_dword v7, v[10:11], off offset:1024
	global_load_dword v6, v[10:11], off offset:2048
	;; [unrolled: 1-line block ×3, first 2 shown]
	v_addc_co_u32_e32 v21, vcc, 0, v12, vcc
	global_load_dword v17, v[18:19], off offset:1024
	global_load_dword v16, v[18:19], off offset:2048
	global_load_dword v15, v[18:19], off offset:3072
	global_load_dword v12, v[20:21], off
	global_load_dword v11, v[20:21], off offset:1024
	global_load_dword v10, v[20:21], off offset:2048
	;; [unrolled: 1-line block ×3, first 2 shown]
	s_load_dword s4, s[4:5], 0x18
	s_mov_b32 s7, s13
	s_lshl_b64 s[0:1], s[6:7], 2
	s_add_u32 s0, s2, s0
	s_addc_u32 s1, s3, s1
	s_waitcnt lgkmcnt(0)
	v_cvt_f32_u32_e32 v18, s4
	s_load_dword s2, s[0:1], 0x0
	s_sub_i32 s0, 0, s4
	v_lshlrev_b32_e32 v33, 4, v0
	v_rcp_iflag_f32_e32 v18, v18
	v_or_b32_e32 v19, 2, v33
	v_or_b32_e32 v20, 3, v33
	;; [unrolled: 1-line block ×3, first 2 shown]
	v_mul_f32_e32 v18, 0x4f7ffffe, v18
	v_cvt_u32_f32_e32 v18, v18
	v_or_b32_e32 v22, 5, v33
	v_or_b32_e32 v23, 6, v33
	;; [unrolled: 1-line block ×3, first 2 shown]
	v_readfirstlane_b32 s1, v18
	s_mul_i32 s0, s0, s1
	s_mul_hi_u32 s0, s1, s0
	s_add_i32 s1, s1, s0
	s_lshr_b32 s0, s1, 20
	s_mul_i32 s1, s0, s4
	s_sub_i32 s1, 0x1000, s1
	s_add_i32 s3, s0, 1
	s_sub_i32 s5, s1, s4
	s_cmp_ge_u32 s1, s4
	s_cselect_b32 s0, s3, s0
	s_cselect_b32 s1, s5, s1
	s_add_i32 s3, s0, 1
	s_cmp_ge_u32 s1, s4
	s_cselect_b32 s3, s3, s0
	s_add_i32 s3, s3, 1
	v_or_b32_e32 v18, 1, v33
	v_or_b32_e32 v25, 8, v33
	;; [unrolled: 1-line block ×9, first 2 shown]
	v_add_u32_e32 v33, 16, v33
	v_or_b32_e32 v34, 0x400, v13
	s_max_u32 s4, s4, 1
	s_branch .LBB214_2
.LBB214_1:                              ;   in Loop: Header=BB214_2 Depth=1
	s_or_b64 exec, exec, s[0:1]
	v_cmp_gt_u32_e32 vcc, s2, v18
	v_cndmask_b32_e32 v36, 0, v3, vcc
	v_cmp_gt_u32_e32 vcc, s2, v19
	v_cndmask_b32_e32 v37, 0, v2, vcc
	v_cmp_gt_u32_e32 vcc, s2, v20
	v_cndmask_b32_e32 v38, 0, v1, vcc
	v_cmp_gt_u32_e32 vcc, s2, v21
	v_cndmask_b32_e32 v39, 0, v14, vcc
	v_cmp_gt_u32_e32 vcc, s2, v22
	v_cndmask_b32_e32 v40, 0, v17, vcc
	v_cmp_gt_u32_e32 vcc, s2, v23
	v_cndmask_b32_e32 v41, 0, v16, vcc
	v_cmp_gt_u32_e32 vcc, s2, v24
	v_cndmask_b32_e32 v42, 0, v15, vcc
	v_cmp_gt_u32_e32 vcc, s2, v25
	v_cndmask_b32_e32 v43, 0, v8, vcc
	v_cmp_gt_u32_e32 vcc, s2, v26
	v_cndmask_b32_e32 v44, 0, v7, vcc
	v_cmp_gt_u32_e32 vcc, s2, v27
	v_cndmask_b32_e32 v45, 0, v6, vcc
	v_cmp_gt_u32_e32 vcc, s2, v28
	v_cndmask_b32_e32 v46, 0, v5, vcc
	v_cmp_gt_u32_e32 vcc, s2, v29
	v_cndmask_b32_e32 v47, 0, v12, vcc
	v_cmp_gt_u32_e32 vcc, s2, v30
	v_cndmask_b32_e32 v48, 0, v11, vcc
	v_cmp_gt_u32_e32 vcc, s2, v31
	v_cndmask_b32_e32 v49, 0, v10, vcc
	v_cmp_gt_u32_e32 vcc, s2, v32
	v_cndmask_b32_e32 v50, 0, v9, vcc
	s_add_i32 s0, s3, s2
	v_sub_u32_e32 v36, v4, v36
	v_sub_u32_e32 v37, v3, v37
	;; [unrolled: 1-line block ×15, first 2 shown]
	s_and_b32 s2, s0, 0xfff
	s_add_i32 s4, s4, -1
	v_add_u32_e32 v4, v36, v4
	v_add_u32_e32 v3, v37, v3
	v_add_u32_e32 v2, v38, v2
	v_add_u32_e32 v1, v39, v1
	v_add_u32_e32 v14, v40, v14
	v_add_u32_e32 v17, v41, v17
	v_add_u32_e32 v16, v42, v16
	v_add_u32_e32 v15, v43, v15
	v_add_u32_e32 v8, v44, v8
	v_add_u32_e32 v7, v45, v7
	v_add_u32_e32 v6, v46, v6
	v_add_u32_e32 v5, v47, v5
	v_add_u32_e32 v12, v48, v12
	v_add_u32_e32 v11, v49, v11
	v_add_u32_e32 v10, v50, v10
	v_add_u32_e32 v9, v35, v9
	s_cmp_lg_u32 s4, 0
	s_barrier
	s_cbranch_scc0 .LBB214_4
.LBB214_2:                              ; =>This Inner Loop Header: Depth=1
	s_waitcnt lgkmcnt(0)
	v_cmp_gt_u32_e32 vcc, s2, v33
	s_waitcnt vmcnt(0)
	v_mov_b32_e32 v35, v9
	ds_write_b32 v13, v4 offset:1024
	s_waitcnt lgkmcnt(0)
	s_barrier
	s_and_saveexec_b64 s[0:1], vcc
	s_cbranch_execz .LBB214_1
; %bb.3:                                ;   in Loop: Header=BB214_2 Depth=1
	ds_read_b32 v35, v34 offset:4
	s_waitcnt lgkmcnt(0)
	v_sub_u32_e32 v35, v9, v35
	s_branch .LBB214_1
.LBB214_4:
	s_add_u32 s0, s8, s10
	s_addc_u32 s1, s9, s11
	v_lshlrev_b32_e32 v0, 2, v0
	v_mov_b32_e32 v13, s1
	v_add_co_u32_e32 v18, vcc, s0, v0
	v_addc_co_u32_e32 v13, vcc, 0, v13, vcc
	global_store_dword v0, v4, s[0:1]
	global_store_dword v0, v3, s[0:1] offset:1024
	global_store_dword v0, v2, s[0:1] offset:2048
	;; [unrolled: 1-line block ×3, first 2 shown]
	v_add_co_u32_e32 v0, vcc, 0x1000, v18
	v_addc_co_u32_e32 v1, vcc, 0, v13, vcc
	global_store_dword v[0:1], v14, off
	global_store_dword v[0:1], v17, off offset:1024
	global_store_dword v[0:1], v16, off offset:2048
	global_store_dword v[0:1], v15, off offset:3072
	v_add_co_u32_e32 v0, vcc, 0x2000, v18
	v_addc_co_u32_e32 v1, vcc, 0, v13, vcc
	global_store_dword v[0:1], v8, off
	global_store_dword v[0:1], v7, off offset:1024
	global_store_dword v[0:1], v6, off offset:2048
	global_store_dword v[0:1], v5, off offset:3072
	;; [unrolled: 6-line block ×3, first 2 shown]
	s_endpgm
	.section	.rodata,"a",@progbits
	.p2align	6, 0x0
	.amdhsa_kernel _Z6kernelI27subtract_right_partial_tileLj256ELj16ELb1EJPiS1_S1_jEEvDpT3_
		.amdhsa_group_segment_fixed_size 2048
		.amdhsa_private_segment_fixed_size 0
		.amdhsa_kernarg_size 28
		.amdhsa_user_sgpr_count 6
		.amdhsa_user_sgpr_private_segment_buffer 1
		.amdhsa_user_sgpr_dispatch_ptr 0
		.amdhsa_user_sgpr_queue_ptr 0
		.amdhsa_user_sgpr_kernarg_segment_ptr 1
		.amdhsa_user_sgpr_dispatch_id 0
		.amdhsa_user_sgpr_flat_scratch_init 0
		.amdhsa_user_sgpr_kernarg_preload_length 0
		.amdhsa_user_sgpr_kernarg_preload_offset 0
		.amdhsa_user_sgpr_private_segment_size 0
		.amdhsa_uses_dynamic_stack 0
		.amdhsa_system_sgpr_private_segment_wavefront_offset 0
		.amdhsa_system_sgpr_workgroup_id_x 1
		.amdhsa_system_sgpr_workgroup_id_y 0
		.amdhsa_system_sgpr_workgroup_id_z 0
		.amdhsa_system_sgpr_workgroup_info 0
		.amdhsa_system_vgpr_workitem_id 0
		.amdhsa_next_free_vgpr 51
		.amdhsa_next_free_sgpr 14
		.amdhsa_accum_offset 52
		.amdhsa_reserve_vcc 1
		.amdhsa_reserve_flat_scratch 0
		.amdhsa_float_round_mode_32 0
		.amdhsa_float_round_mode_16_64 0
		.amdhsa_float_denorm_mode_32 3
		.amdhsa_float_denorm_mode_16_64 3
		.amdhsa_dx10_clamp 1
		.amdhsa_ieee_mode 1
		.amdhsa_fp16_overflow 0
		.amdhsa_tg_split 0
		.amdhsa_exception_fp_ieee_invalid_op 0
		.amdhsa_exception_fp_denorm_src 0
		.amdhsa_exception_fp_ieee_div_zero 0
		.amdhsa_exception_fp_ieee_overflow 0
		.amdhsa_exception_fp_ieee_underflow 0
		.amdhsa_exception_fp_ieee_inexact 0
		.amdhsa_exception_int_div_zero 0
	.end_amdhsa_kernel
	.section	.text._Z6kernelI27subtract_right_partial_tileLj256ELj16ELb1EJPiS1_S1_jEEvDpT3_,"axG",@progbits,_Z6kernelI27subtract_right_partial_tileLj256ELj16ELb1EJPiS1_S1_jEEvDpT3_,comdat
.Lfunc_end214:
	.size	_Z6kernelI27subtract_right_partial_tileLj256ELj16ELb1EJPiS1_S1_jEEvDpT3_, .Lfunc_end214-_Z6kernelI27subtract_right_partial_tileLj256ELj16ELb1EJPiS1_S1_jEEvDpT3_
                                        ; -- End function
	.section	.AMDGPU.csdata,"",@progbits
; Kernel info:
; codeLenInByte = 960
; NumSgprs: 18
; NumVgprs: 51
; NumAgprs: 0
; TotalNumVgprs: 51
; ScratchSize: 0
; MemoryBound: 0
; FloatMode: 240
; IeeeMode: 1
; LDSByteSize: 2048 bytes/workgroup (compile time only)
; SGPRBlocks: 2
; VGPRBlocks: 6
; NumSGPRsForWavesPerEU: 18
; NumVGPRsForWavesPerEU: 51
; AccumOffset: 52
; Occupancy: 8
; WaveLimiterHint : 1
; COMPUTE_PGM_RSRC2:SCRATCH_EN: 0
; COMPUTE_PGM_RSRC2:USER_SGPR: 6
; COMPUTE_PGM_RSRC2:TRAP_HANDLER: 0
; COMPUTE_PGM_RSRC2:TGID_X_EN: 1
; COMPUTE_PGM_RSRC2:TGID_Y_EN: 0
; COMPUTE_PGM_RSRC2:TGID_Z_EN: 0
; COMPUTE_PGM_RSRC2:TIDIG_COMP_CNT: 0
; COMPUTE_PGM_RSRC3_GFX90A:ACCUM_OFFSET: 12
; COMPUTE_PGM_RSRC3_GFX90A:TG_SPLIT: 0
	.section	.text._Z6kernelI27subtract_right_partial_tileLj256ELj32ELb1EJPiS1_S1_jEEvDpT3_,"axG",@progbits,_Z6kernelI27subtract_right_partial_tileLj256ELj32ELb1EJPiS1_S1_jEEvDpT3_,comdat
	.protected	_Z6kernelI27subtract_right_partial_tileLj256ELj32ELb1EJPiS1_S1_jEEvDpT3_ ; -- Begin function _Z6kernelI27subtract_right_partial_tileLj256ELj32ELb1EJPiS1_S1_jEEvDpT3_
	.globl	_Z6kernelI27subtract_right_partial_tileLj256ELj32ELb1EJPiS1_S1_jEEvDpT3_
	.p2align	8
	.type	_Z6kernelI27subtract_right_partial_tileLj256ELj32ELb1EJPiS1_S1_jEEvDpT3_,@function
_Z6kernelI27subtract_right_partial_tileLj256ELj32ELb1EJPiS1_S1_jEEvDpT3_: ; @_Z6kernelI27subtract_right_partial_tileLj256ELj32ELb1EJPiS1_S1_jEEvDpT3_
; %bb.0:
	s_load_dwordx4 s[0:3], s[4:5], 0x0
	s_load_dwordx2 s[8:9], s[4:5], 0x10
	s_lshl_b32 s12, s6, 13
	s_mov_b32 s13, 0
	s_lshl_b64 s[10:11], s[12:13], 2
	s_waitcnt lgkmcnt(0)
	s_add_u32 s0, s0, s10
	s_addc_u32 s1, s1, s11
	v_lshlrev_b32_e32 v3, 2, v0
	v_mov_b32_e32 v1, s1
	v_add_co_u32_e32 v29, vcc, s0, v3
	v_addc_co_u32_e32 v37, vcc, 0, v1, vcc
	s_movk_i32 s7, 0x1000
	v_add_co_u32_e32 v22, vcc, s7, v29
	v_addc_co_u32_e32 v23, vcc, 0, v37, vcc
	s_movk_i32 s7, 0x2000
	;; [unrolled: 3-line block ×6, first 2 shown]
	v_add_co_u32_e32 v32, vcc, s7, v29
	global_load_dword v15, v[10:11], off offset:-4096
	global_load_dword v8, v[10:11], off
	global_load_dword v7, v[10:11], off offset:1024
	global_load_dword v6, v[10:11], off offset:2048
	;; [unrolled: 1-line block ×3, first 2 shown]
	global_load_dword v4, v[30:31], off offset:-4096
	global_load_dword v2, v[30:31], off
	global_load_dword v1, v[30:31], off offset:1024
	v_addc_co_u32_e32 v33, vcc, 0, v37, vcc
	global_load_dword v28, v[22:23], off offset:1024
	global_load_dword v27, v[22:23], off offset:2048
	;; [unrolled: 1-line block ×10, first 2 shown]
	global_load_dword v16, v[32:33], off offset:-4096
	global_load_dword v12, v[32:33], off
	global_load_dword v11, v[32:33], off offset:1024
	global_load_dword v10, v[32:33], off offset:2048
	;; [unrolled: 1-line block ×3, first 2 shown]
	s_movk_i32 s7, 0x7000
	v_add_co_u32_e32 v36, vcc, s7, v29
	v_addc_co_u32_e32 v37, vcc, 0, v37, vcc
	global_load_dword v29, v[34:35], off offset:3072
	global_load_dword v25, v[36:37], off
	global_load_dword v24, v[36:37], off offset:1024
	global_load_dword v23, v[36:37], off offset:2048
	;; [unrolled: 1-line block ×3, first 2 shown]
	global_load_dword v33, v3, s[0:1]
	global_load_dword v32, v3, s[0:1] offset:1024
	global_load_dword v31, v3, s[0:1] offset:2048
	;; [unrolled: 1-line block ×3, first 2 shown]
	s_load_dword s4, s[4:5], 0x18
	s_mov_b32 s7, s13
	s_lshl_b64 s[0:1], s[6:7], 2
	s_add_u32 s0, s2, s0
	s_addc_u32 s1, s3, s1
	s_waitcnt lgkmcnt(0)
	v_cvt_f32_u32_e32 v34, s4
	s_load_dword s2, s[0:1], 0x0
	s_sub_i32 s0, 0, s4
	v_lshlrev_b32_e32 v65, 5, v0
	v_rcp_iflag_f32_e32 v34, v34
	v_or_b32_e32 v35, 2, v65
	v_or_b32_e32 v36, 3, v65
	;; [unrolled: 1-line block ×3, first 2 shown]
	v_mul_f32_e32 v34, 0x4f7ffffe, v34
	v_cvt_u32_f32_e32 v34, v34
	v_or_b32_e32 v38, 5, v65
	v_or_b32_e32 v39, 6, v65
	v_or_b32_e32 v40, 7, v65
	v_readfirstlane_b32 s1, v34
	s_mul_i32 s0, s0, s1
	s_mul_hi_u32 s0, s1, s0
	s_add_i32 s1, s1, s0
	s_lshr_b32 s0, s1, 19
	s_mul_i32 s1, s0, s4
	s_sub_i32 s1, 0x2000, s1
	s_add_i32 s3, s0, 1
	s_sub_i32 s5, s1, s4
	s_cmp_ge_u32 s1, s4
	s_cselect_b32 s0, s3, s0
	s_cselect_b32 s1, s5, s1
	s_add_i32 s3, s0, 1
	s_cmp_ge_u32 s1, s4
	s_cselect_b32 s3, s3, s0
	s_add_i32 s3, s3, 1
	v_or_b32_e32 v34, 1, v65
	v_or_b32_e32 v41, 8, v65
	;; [unrolled: 1-line block ×25, first 2 shown]
	v_add_u32_e32 v65, 32, v65
	s_max_u32 s4, s4, 1
	v_or_b32_e32 v66, 0x400, v3
	s_branch .LBB215_2
.LBB215_1:                              ;   in Loop: Header=BB215_2 Depth=1
	s_or_b64 exec, exec, s[0:1]
	v_cmp_gt_u32_e32 vcc, s2, v34
	s_waitcnt vmcnt(2)
	v_cndmask_b32_e32 v68, 0, v32, vcc
	v_sub_u32_e32 v68, v33, v68
	v_cmp_gt_u32_e32 vcc, s2, v35
	v_add_u32_e32 v33, v68, v33
	s_waitcnt vmcnt(1)
	v_cndmask_b32_e32 v68, 0, v31, vcc
	v_sub_u32_e32 v68, v32, v68
	v_cmp_gt_u32_e32 vcc, s2, v36
	v_add_u32_e32 v32, v68, v32
	;; [unrolled: 5-line block ×3, first 2 shown]
	v_cndmask_b32_e32 v68, 0, v15, vcc
	v_sub_u32_e32 v68, v30, v68
	v_cmp_gt_u32_e32 vcc, s2, v38
	v_add_u32_e32 v30, v68, v30
	v_cndmask_b32_e32 v68, 0, v28, vcc
	v_sub_u32_e32 v68, v15, v68
	v_cmp_gt_u32_e32 vcc, s2, v39
	v_add_u32_e32 v15, v68, v15
	;; [unrolled: 4-line block ×27, first 2 shown]
	v_cndmask_b32_e32 v68, 0, v22, vcc
	s_add_i32 s0, s3, s2
	v_sub_u32_e32 v68, v23, v68
	s_and_b32 s2, s0, 0x1fff
	s_add_i32 s4, s4, -1
	v_add_u32_e32 v23, v68, v23
	v_add_u32_e32 v22, v67, v22
	s_cmp_lg_u32 s4, 0
	s_barrier
	s_cbranch_scc0 .LBB215_4
.LBB215_2:                              ; =>This Inner Loop Header: Depth=1
	s_waitcnt lgkmcnt(0)
	v_cmp_gt_u32_e32 vcc, s2, v65
	s_waitcnt vmcnt(4)
	v_mov_b32_e32 v67, v22
	s_waitcnt vmcnt(3)
	ds_write_b32 v3, v33 offset:1024
	s_waitcnt lgkmcnt(0)
	s_barrier
	s_and_saveexec_b64 s[0:1], vcc
	s_cbranch_execz .LBB215_1
; %bb.3:                                ;   in Loop: Header=BB215_2 Depth=1
	ds_read_b32 v67, v66 offset:4
	s_waitcnt lgkmcnt(0)
	v_sub_u32_e32 v67, v22, v67
	s_branch .LBB215_1
.LBB215_4:
	s_add_u32 s0, s8, s10
	s_addc_u32 s1, s9, s11
	v_lshlrev_b32_e32 v0, 2, v0
	v_mov_b32_e32 v3, s1
	v_add_co_u32_e32 v34, vcc, s0, v0
	v_addc_co_u32_e32 v3, vcc, 0, v3, vcc
	global_store_dword v0, v33, s[0:1]
	global_store_dword v0, v32, s[0:1] offset:1024
	global_store_dword v0, v31, s[0:1] offset:2048
	;; [unrolled: 1-line block ×3, first 2 shown]
	v_add_co_u32_e32 v30, vcc, 0x1000, v34
	v_addc_co_u32_e32 v31, vcc, 0, v3, vcc
	global_store_dword v[30:31], v15, off
	global_store_dword v[30:31], v28, off offset:1024
	global_store_dword v[30:31], v27, off offset:2048
	global_store_dword v[30:31], v26, off offset:3072
	v_add_co_u32_e32 v26, vcc, 0x2000, v34
	v_addc_co_u32_e32 v27, vcc, 0, v3, vcc
	global_store_dword v[26:27], v8, off
	global_store_dword v[26:27], v7, off offset:1024
	global_store_dword v[26:27], v6, off offset:2048
	global_store_dword v[26:27], v5, off offset:3072
	;; [unrolled: 6-line block ×3, first 2 shown]
	v_add_co_u32_e32 v4, vcc, 0x4000, v34
	v_addc_co_u32_e32 v5, vcc, 0, v3, vcc
	v_add_co_u32_e32 v0, vcc, 0x5000, v34
	global_store_dword v[4:5], v2, off
	global_store_dword v[4:5], v1, off offset:1024
	global_store_dword v[4:5], v18, off offset:2048
	;; [unrolled: 1-line block ×3, first 2 shown]
	v_addc_co_u32_e32 v1, vcc, 0, v3, vcc
	global_store_dword v[0:1], v16, off
	global_store_dword v[0:1], v14, off offset:1024
	global_store_dword v[0:1], v13, off offset:2048
	;; [unrolled: 1-line block ×3, first 2 shown]
	v_add_co_u32_e32 v0, vcc, 0x6000, v34
	v_addc_co_u32_e32 v1, vcc, 0, v3, vcc
	global_store_dword v[0:1], v12, off
	global_store_dword v[0:1], v11, off offset:1024
	global_store_dword v[0:1], v10, off offset:2048
	global_store_dword v[0:1], v9, off offset:3072
	v_add_co_u32_e32 v0, vcc, 0x7000, v34
	v_addc_co_u32_e32 v1, vcc, 0, v3, vcc
	global_store_dword v[0:1], v25, off
	global_store_dword v[0:1], v24, off offset:1024
	global_store_dword v[0:1], v23, off offset:2048
	;; [unrolled: 1-line block ×3, first 2 shown]
	s_endpgm
	.section	.rodata,"a",@progbits
	.p2align	6, 0x0
	.amdhsa_kernel _Z6kernelI27subtract_right_partial_tileLj256ELj32ELb1EJPiS1_S1_jEEvDpT3_
		.amdhsa_group_segment_fixed_size 2048
		.amdhsa_private_segment_fixed_size 0
		.amdhsa_kernarg_size 28
		.amdhsa_user_sgpr_count 6
		.amdhsa_user_sgpr_private_segment_buffer 1
		.amdhsa_user_sgpr_dispatch_ptr 0
		.amdhsa_user_sgpr_queue_ptr 0
		.amdhsa_user_sgpr_kernarg_segment_ptr 1
		.amdhsa_user_sgpr_dispatch_id 0
		.amdhsa_user_sgpr_flat_scratch_init 0
		.amdhsa_user_sgpr_kernarg_preload_length 0
		.amdhsa_user_sgpr_kernarg_preload_offset 0
		.amdhsa_user_sgpr_private_segment_size 0
		.amdhsa_uses_dynamic_stack 0
		.amdhsa_system_sgpr_private_segment_wavefront_offset 0
		.amdhsa_system_sgpr_workgroup_id_x 1
		.amdhsa_system_sgpr_workgroup_id_y 0
		.amdhsa_system_sgpr_workgroup_id_z 0
		.amdhsa_system_sgpr_workgroup_info 0
		.amdhsa_system_vgpr_workitem_id 0
		.amdhsa_next_free_vgpr 69
		.amdhsa_next_free_sgpr 14
		.amdhsa_accum_offset 72
		.amdhsa_reserve_vcc 1
		.amdhsa_reserve_flat_scratch 0
		.amdhsa_float_round_mode_32 0
		.amdhsa_float_round_mode_16_64 0
		.amdhsa_float_denorm_mode_32 3
		.amdhsa_float_denorm_mode_16_64 3
		.amdhsa_dx10_clamp 1
		.amdhsa_ieee_mode 1
		.amdhsa_fp16_overflow 0
		.amdhsa_tg_split 0
		.amdhsa_exception_fp_ieee_invalid_op 0
		.amdhsa_exception_fp_denorm_src 0
		.amdhsa_exception_fp_ieee_div_zero 0
		.amdhsa_exception_fp_ieee_overflow 0
		.amdhsa_exception_fp_ieee_underflow 0
		.amdhsa_exception_fp_ieee_inexact 0
		.amdhsa_exception_int_div_zero 0
	.end_amdhsa_kernel
	.section	.text._Z6kernelI27subtract_right_partial_tileLj256ELj32ELb1EJPiS1_S1_jEEvDpT3_,"axG",@progbits,_Z6kernelI27subtract_right_partial_tileLj256ELj32ELb1EJPiS1_S1_jEEvDpT3_,comdat
.Lfunc_end215:
	.size	_Z6kernelI27subtract_right_partial_tileLj256ELj32ELb1EJPiS1_S1_jEEvDpT3_, .Lfunc_end215-_Z6kernelI27subtract_right_partial_tileLj256ELj32ELb1EJPiS1_S1_jEEvDpT3_
                                        ; -- End function
	.section	.AMDGPU.csdata,"",@progbits
; Kernel info:
; codeLenInByte = 1648
; NumSgprs: 18
; NumVgprs: 69
; NumAgprs: 0
; TotalNumVgprs: 69
; ScratchSize: 0
; MemoryBound: 0
; FloatMode: 240
; IeeeMode: 1
; LDSByteSize: 2048 bytes/workgroup (compile time only)
; SGPRBlocks: 2
; VGPRBlocks: 8
; NumSGPRsForWavesPerEU: 18
; NumVGPRsForWavesPerEU: 69
; AccumOffset: 72
; Occupancy: 7
; WaveLimiterHint : 1
; COMPUTE_PGM_RSRC2:SCRATCH_EN: 0
; COMPUTE_PGM_RSRC2:USER_SGPR: 6
; COMPUTE_PGM_RSRC2:TRAP_HANDLER: 0
; COMPUTE_PGM_RSRC2:TGID_X_EN: 1
; COMPUTE_PGM_RSRC2:TGID_Y_EN: 0
; COMPUTE_PGM_RSRC2:TGID_Z_EN: 0
; COMPUTE_PGM_RSRC2:TIDIG_COMP_CNT: 0
; COMPUTE_PGM_RSRC3_GFX90A:ACCUM_OFFSET: 17
; COMPUTE_PGM_RSRC3_GFX90A:TG_SPLIT: 0
	.section	.text._Z6kernelI27subtract_right_partial_tileLj256ELj1ELb1EJPfPiS1_jEEvDpT3_,"axG",@progbits,_Z6kernelI27subtract_right_partial_tileLj256ELj1ELb1EJPfPiS1_jEEvDpT3_,comdat
	.protected	_Z6kernelI27subtract_right_partial_tileLj256ELj1ELb1EJPfPiS1_jEEvDpT3_ ; -- Begin function _Z6kernelI27subtract_right_partial_tileLj256ELj1ELb1EJPfPiS1_jEEvDpT3_
	.globl	_Z6kernelI27subtract_right_partial_tileLj256ELj1ELb1EJPfPiS1_jEEvDpT3_
	.p2align	8
	.type	_Z6kernelI27subtract_right_partial_tileLj256ELj1ELb1EJPfPiS1_jEEvDpT3_,@function
_Z6kernelI27subtract_right_partial_tileLj256ELj1ELb1EJPfPiS1_jEEvDpT3_: ; @_Z6kernelI27subtract_right_partial_tileLj256ELj1ELb1EJPfPiS1_jEEvDpT3_
; %bb.0:
	s_load_dwordx4 s[8:11], s[4:5], 0x0
	s_load_dwordx2 s[0:1], s[4:5], 0x10
	s_lshl_b32 s12, s6, 8
	s_mov_b32 s13, 0
	s_lshl_b64 s[2:3], s[12:13], 2
	s_waitcnt lgkmcnt(0)
	s_add_u32 s8, s8, s2
	s_addc_u32 s9, s9, s3
	v_lshlrev_b32_e32 v2, 2, v0
	global_load_dword v1, v2, s[8:9]
	s_load_dword s8, s[4:5], 0x18
	s_mov_b32 s7, s13
	s_lshl_b64 s[4:5], s[6:7], 2
	s_add_u32 s4, s10, s4
	s_addc_u32 s5, s11, s5
	s_waitcnt lgkmcnt(0)
	v_cvt_f32_u32_e32 v3, s8
	s_load_dword s6, s[4:5], 0x0
	s_sub_i32 s4, 0, s8
	v_or_b32_e32 v4, 0x400, v2
	v_rcp_iflag_f32_e32 v3, v3
	v_mul_f32_e32 v3, 0x4f7ffffe, v3
	v_cvt_u32_f32_e32 v3, v3
	v_readfirstlane_b32 s5, v3
	s_mul_i32 s4, s4, s5
	s_mul_hi_u32 s4, s5, s4
	s_add_i32 s5, s5, s4
	s_lshr_b32 s4, s5, 24
	s_mul_i32 s5, s4, s8
	s_sub_i32 s5, 0x100, s5
	s_add_i32 s7, s4, 1
	s_sub_i32 s9, s5, s8
	s_cmp_ge_u32 s5, s8
	s_cselect_b32 s4, s7, s4
	s_cselect_b32 s5, s9, s5
	s_add_i32 s7, s4, 1
	s_cmp_ge_u32 s5, s8
	s_cselect_b32 s7, s7, s4
	s_add_i32 s7, s7, 1
	v_add_u32_e32 v3, 1, v0
	s_max_u32 s8, s8, 1
	s_branch .LBB216_2
.LBB216_1:                              ;   in Loop: Header=BB216_2 Depth=1
	s_or_b64 exec, exec, s[4:5]
	s_add_i32 s4, s7, s6
	s_and_b32 s6, s4, 0xff
	s_add_i32 s8, s8, -1
	v_add_f32_e32 v1, v1, v5
	s_cmp_lg_u32 s8, 0
	s_barrier
	s_cbranch_scc0 .LBB216_4
.LBB216_2:                              ; =>This Inner Loop Header: Depth=1
	s_waitcnt lgkmcnt(0)
	v_cmp_gt_u32_e32 vcc, s6, v3
	s_waitcnt vmcnt(0)
	v_mov_b32_e32 v5, v1
	ds_write_b32 v2, v1 offset:1024
	s_waitcnt lgkmcnt(0)
	s_barrier
	s_and_saveexec_b64 s[4:5], vcc
	s_cbranch_execz .LBB216_1
; %bb.3:                                ;   in Loop: Header=BB216_2 Depth=1
	ds_read_b32 v5, v4 offset:4
	s_waitcnt lgkmcnt(0)
	v_sub_f32_e32 v5, v1, v5
	s_branch .LBB216_1
.LBB216_4:
	s_add_u32 s0, s0, s2
	s_addc_u32 s1, s1, s3
	v_lshlrev_b32_e32 v0, 2, v0
	global_store_dword v0, v1, s[0:1]
	s_endpgm
	.section	.rodata,"a",@progbits
	.p2align	6, 0x0
	.amdhsa_kernel _Z6kernelI27subtract_right_partial_tileLj256ELj1ELb1EJPfPiS1_jEEvDpT3_
		.amdhsa_group_segment_fixed_size 2048
		.amdhsa_private_segment_fixed_size 0
		.amdhsa_kernarg_size 28
		.amdhsa_user_sgpr_count 6
		.amdhsa_user_sgpr_private_segment_buffer 1
		.amdhsa_user_sgpr_dispatch_ptr 0
		.amdhsa_user_sgpr_queue_ptr 0
		.amdhsa_user_sgpr_kernarg_segment_ptr 1
		.amdhsa_user_sgpr_dispatch_id 0
		.amdhsa_user_sgpr_flat_scratch_init 0
		.amdhsa_user_sgpr_kernarg_preload_length 0
		.amdhsa_user_sgpr_kernarg_preload_offset 0
		.amdhsa_user_sgpr_private_segment_size 0
		.amdhsa_uses_dynamic_stack 0
		.amdhsa_system_sgpr_private_segment_wavefront_offset 0
		.amdhsa_system_sgpr_workgroup_id_x 1
		.amdhsa_system_sgpr_workgroup_id_y 0
		.amdhsa_system_sgpr_workgroup_id_z 0
		.amdhsa_system_sgpr_workgroup_info 0
		.amdhsa_system_vgpr_workitem_id 0
		.amdhsa_next_free_vgpr 6
		.amdhsa_next_free_sgpr 14
		.amdhsa_accum_offset 8
		.amdhsa_reserve_vcc 1
		.amdhsa_reserve_flat_scratch 0
		.amdhsa_float_round_mode_32 0
		.amdhsa_float_round_mode_16_64 0
		.amdhsa_float_denorm_mode_32 3
		.amdhsa_float_denorm_mode_16_64 3
		.amdhsa_dx10_clamp 1
		.amdhsa_ieee_mode 1
		.amdhsa_fp16_overflow 0
		.amdhsa_tg_split 0
		.amdhsa_exception_fp_ieee_invalid_op 0
		.amdhsa_exception_fp_denorm_src 0
		.amdhsa_exception_fp_ieee_div_zero 0
		.amdhsa_exception_fp_ieee_overflow 0
		.amdhsa_exception_fp_ieee_underflow 0
		.amdhsa_exception_fp_ieee_inexact 0
		.amdhsa_exception_int_div_zero 0
	.end_amdhsa_kernel
	.section	.text._Z6kernelI27subtract_right_partial_tileLj256ELj1ELb1EJPfPiS1_jEEvDpT3_,"axG",@progbits,_Z6kernelI27subtract_right_partial_tileLj256ELj1ELb1EJPfPiS1_jEEvDpT3_,comdat
.Lfunc_end216:
	.size	_Z6kernelI27subtract_right_partial_tileLj256ELj1ELb1EJPfPiS1_jEEvDpT3_, .Lfunc_end216-_Z6kernelI27subtract_right_partial_tileLj256ELj1ELb1EJPfPiS1_jEEvDpT3_
                                        ; -- End function
	.section	.AMDGPU.csdata,"",@progbits
; Kernel info:
; codeLenInByte = 320
; NumSgprs: 18
; NumVgprs: 6
; NumAgprs: 0
; TotalNumVgprs: 6
; ScratchSize: 0
; MemoryBound: 0
; FloatMode: 240
; IeeeMode: 1
; LDSByteSize: 2048 bytes/workgroup (compile time only)
; SGPRBlocks: 2
; VGPRBlocks: 0
; NumSGPRsForWavesPerEU: 18
; NumVGPRsForWavesPerEU: 6
; AccumOffset: 8
; Occupancy: 8
; WaveLimiterHint : 0
; COMPUTE_PGM_RSRC2:SCRATCH_EN: 0
; COMPUTE_PGM_RSRC2:USER_SGPR: 6
; COMPUTE_PGM_RSRC2:TRAP_HANDLER: 0
; COMPUTE_PGM_RSRC2:TGID_X_EN: 1
; COMPUTE_PGM_RSRC2:TGID_Y_EN: 0
; COMPUTE_PGM_RSRC2:TGID_Z_EN: 0
; COMPUTE_PGM_RSRC2:TIDIG_COMP_CNT: 0
; COMPUTE_PGM_RSRC3_GFX90A:ACCUM_OFFSET: 1
; COMPUTE_PGM_RSRC3_GFX90A:TG_SPLIT: 0
	.section	.text._Z6kernelI27subtract_right_partial_tileLj256ELj3ELb1EJPfPiS1_jEEvDpT3_,"axG",@progbits,_Z6kernelI27subtract_right_partial_tileLj256ELj3ELb1EJPfPiS1_jEEvDpT3_,comdat
	.protected	_Z6kernelI27subtract_right_partial_tileLj256ELj3ELb1EJPfPiS1_jEEvDpT3_ ; -- Begin function _Z6kernelI27subtract_right_partial_tileLj256ELj3ELb1EJPfPiS1_jEEvDpT3_
	.globl	_Z6kernelI27subtract_right_partial_tileLj256ELj3ELb1EJPfPiS1_jEEvDpT3_
	.p2align	8
	.type	_Z6kernelI27subtract_right_partial_tileLj256ELj3ELb1EJPfPiS1_jEEvDpT3_,@function
_Z6kernelI27subtract_right_partial_tileLj256ELj3ELb1EJPfPiS1_jEEvDpT3_: ; @_Z6kernelI27subtract_right_partial_tileLj256ELj3ELb1EJPfPiS1_jEEvDpT3_
; %bb.0:
	s_load_dwordx4 s[8:11], s[4:5], 0x0
	s_load_dwordx2 s[0:1], s[4:5], 0x10
	s_mul_i32 s12, s6, 0x300
	s_mov_b32 s13, 0
	s_lshl_b64 s[2:3], s[12:13], 2
	s_waitcnt lgkmcnt(0)
	s_add_u32 s8, s8, s2
	s_addc_u32 s9, s9, s3
	v_lshlrev_b32_e32 v4, 2, v0
	global_load_dword v1, v4, s[8:9]
	global_load_dword v2, v4, s[8:9] offset:1024
	global_load_dword v3, v4, s[8:9] offset:2048
	s_load_dword s8, s[4:5], 0x18
	s_mov_b32 s7, s13
	s_lshl_b64 s[4:5], s[6:7], 2
	s_add_u32 s4, s10, s4
	s_addc_u32 s5, s11, s5
	s_waitcnt lgkmcnt(0)
	v_cvt_f32_u32_e32 v5, s8
	s_load_dword s6, s[4:5], 0x0
	s_sub_i32 s4, 0, s8
	v_mad_u32_u24 v6, v0, 3, 2
	v_rcp_iflag_f32_e32 v5, v5
	v_mad_u32_u24 v7, v0, 3, 3
	v_or_b32_e32 v8, 0x400, v4
	v_mul_f32_e32 v5, 0x4f7ffffe, v5
	v_cvt_u32_f32_e32 v5, v5
	v_readfirstlane_b32 s5, v5
	s_mul_i32 s4, s4, s5
	s_mul_hi_u32 s4, s5, s4
	s_add_i32 s5, s5, s4
	s_mul_hi_u32 s4, s5, 0x300
	s_mul_i32 s5, s4, s8
	s_sub_i32 s5, 0x300, s5
	s_add_i32 s7, s4, 1
	s_sub_i32 s9, s5, s8
	s_cmp_ge_u32 s5, s8
	s_cselect_b32 s4, s7, s4
	s_cselect_b32 s5, s9, s5
	s_add_i32 s7, s4, 1
	s_cmp_ge_u32 s5, s8
	s_cselect_b32 s7, s7, s4
	s_add_i32 s7, s7, 1
	v_mad_u32_u24 v5, v0, 3, 1
	s_max_u32 s8, s8, 1
	s_branch .LBB217_2
.LBB217_1:                              ;   in Loop: Header=BB217_2 Depth=1
	s_or_b64 exec, exec, s[4:5]
	s_add_i32 s4, s7, s6
	s_mul_hi_u32 s5, s4, 0xaaaaaaab
	s_lshr_b32 s5, s5, 9
	s_mulk_i32 s5, 0x300
	s_sub_i32 s6, s4, s5
	s_add_i32 s8, s8, -1
	v_add_f32_e32 v2, v2, v10
	v_add_f32_e32 v1, v1, v9
	v_add_f32_e32 v3, v3, v11
	s_cmp_lg_u32 s8, 0
	s_barrier
	s_cbranch_scc0 .LBB217_4
.LBB217_2:                              ; =>This Inner Loop Header: Depth=1
	s_waitcnt vmcnt(1)
	v_sub_f32_e32 v9, v1, v2
	s_waitcnt lgkmcnt(0)
	v_cmp_gt_u32_e32 vcc, s6, v5
	v_cndmask_b32_e32 v9, v1, v9, vcc
	s_waitcnt vmcnt(0)
	v_sub_f32_e32 v10, v2, v3
	v_cmp_gt_u32_e32 vcc, s6, v6
	v_cndmask_b32_e32 v10, v2, v10, vcc
	v_cmp_gt_u32_e32 vcc, s6, v7
	v_mov_b32_e32 v11, v3
	ds_write_b32 v4, v1 offset:1024
	s_waitcnt lgkmcnt(0)
	s_barrier
	s_and_saveexec_b64 s[4:5], vcc
	s_cbranch_execz .LBB217_1
; %bb.3:                                ;   in Loop: Header=BB217_2 Depth=1
	ds_read_b32 v11, v8 offset:4
	s_waitcnt lgkmcnt(0)
	v_sub_f32_e32 v11, v3, v11
	s_branch .LBB217_1
.LBB217_4:
	s_add_u32 s0, s0, s2
	s_addc_u32 s1, s1, s3
	v_lshlrev_b32_e32 v0, 2, v0
	global_store_dword v0, v1, s[0:1]
	global_store_dword v0, v2, s[0:1] offset:1024
	global_store_dword v0, v3, s[0:1] offset:2048
	s_endpgm
	.section	.rodata,"a",@progbits
	.p2align	6, 0x0
	.amdhsa_kernel _Z6kernelI27subtract_right_partial_tileLj256ELj3ELb1EJPfPiS1_jEEvDpT3_
		.amdhsa_group_segment_fixed_size 2048
		.amdhsa_private_segment_fixed_size 0
		.amdhsa_kernarg_size 28
		.amdhsa_user_sgpr_count 6
		.amdhsa_user_sgpr_private_segment_buffer 1
		.amdhsa_user_sgpr_dispatch_ptr 0
		.amdhsa_user_sgpr_queue_ptr 0
		.amdhsa_user_sgpr_kernarg_segment_ptr 1
		.amdhsa_user_sgpr_dispatch_id 0
		.amdhsa_user_sgpr_flat_scratch_init 0
		.amdhsa_user_sgpr_kernarg_preload_length 0
		.amdhsa_user_sgpr_kernarg_preload_offset 0
		.amdhsa_user_sgpr_private_segment_size 0
		.amdhsa_uses_dynamic_stack 0
		.amdhsa_system_sgpr_private_segment_wavefront_offset 0
		.amdhsa_system_sgpr_workgroup_id_x 1
		.amdhsa_system_sgpr_workgroup_id_y 0
		.amdhsa_system_sgpr_workgroup_id_z 0
		.amdhsa_system_sgpr_workgroup_info 0
		.amdhsa_system_vgpr_workitem_id 0
		.amdhsa_next_free_vgpr 12
		.amdhsa_next_free_sgpr 14
		.amdhsa_accum_offset 12
		.amdhsa_reserve_vcc 1
		.amdhsa_reserve_flat_scratch 0
		.amdhsa_float_round_mode_32 0
		.amdhsa_float_round_mode_16_64 0
		.amdhsa_float_denorm_mode_32 3
		.amdhsa_float_denorm_mode_16_64 3
		.amdhsa_dx10_clamp 1
		.amdhsa_ieee_mode 1
		.amdhsa_fp16_overflow 0
		.amdhsa_tg_split 0
		.amdhsa_exception_fp_ieee_invalid_op 0
		.amdhsa_exception_fp_denorm_src 0
		.amdhsa_exception_fp_ieee_div_zero 0
		.amdhsa_exception_fp_ieee_overflow 0
		.amdhsa_exception_fp_ieee_underflow 0
		.amdhsa_exception_fp_ieee_inexact 0
		.amdhsa_exception_int_div_zero 0
	.end_amdhsa_kernel
	.section	.text._Z6kernelI27subtract_right_partial_tileLj256ELj3ELb1EJPfPiS1_jEEvDpT3_,"axG",@progbits,_Z6kernelI27subtract_right_partial_tileLj256ELj3ELb1EJPfPiS1_jEEvDpT3_,comdat
.Lfunc_end217:
	.size	_Z6kernelI27subtract_right_partial_tileLj256ELj3ELb1EJPfPiS1_jEEvDpT3_, .Lfunc_end217-_Z6kernelI27subtract_right_partial_tileLj256ELj3ELb1EJPfPiS1_jEEvDpT3_
                                        ; -- End function
	.section	.AMDGPU.csdata,"",@progbits
; Kernel info:
; codeLenInByte = 428
; NumSgprs: 18
; NumVgprs: 12
; NumAgprs: 0
; TotalNumVgprs: 12
; ScratchSize: 0
; MemoryBound: 0
; FloatMode: 240
; IeeeMode: 1
; LDSByteSize: 2048 bytes/workgroup (compile time only)
; SGPRBlocks: 2
; VGPRBlocks: 1
; NumSGPRsForWavesPerEU: 18
; NumVGPRsForWavesPerEU: 12
; AccumOffset: 12
; Occupancy: 8
; WaveLimiterHint : 1
; COMPUTE_PGM_RSRC2:SCRATCH_EN: 0
; COMPUTE_PGM_RSRC2:USER_SGPR: 6
; COMPUTE_PGM_RSRC2:TRAP_HANDLER: 0
; COMPUTE_PGM_RSRC2:TGID_X_EN: 1
; COMPUTE_PGM_RSRC2:TGID_Y_EN: 0
; COMPUTE_PGM_RSRC2:TGID_Z_EN: 0
; COMPUTE_PGM_RSRC2:TIDIG_COMP_CNT: 0
; COMPUTE_PGM_RSRC3_GFX90A:ACCUM_OFFSET: 2
; COMPUTE_PGM_RSRC3_GFX90A:TG_SPLIT: 0
	.section	.text._Z6kernelI27subtract_right_partial_tileLj256ELj4ELb1EJPfPiS1_jEEvDpT3_,"axG",@progbits,_Z6kernelI27subtract_right_partial_tileLj256ELj4ELb1EJPfPiS1_jEEvDpT3_,comdat
	.protected	_Z6kernelI27subtract_right_partial_tileLj256ELj4ELb1EJPfPiS1_jEEvDpT3_ ; -- Begin function _Z6kernelI27subtract_right_partial_tileLj256ELj4ELb1EJPfPiS1_jEEvDpT3_
	.globl	_Z6kernelI27subtract_right_partial_tileLj256ELj4ELb1EJPfPiS1_jEEvDpT3_
	.p2align	8
	.type	_Z6kernelI27subtract_right_partial_tileLj256ELj4ELb1EJPfPiS1_jEEvDpT3_,@function
_Z6kernelI27subtract_right_partial_tileLj256ELj4ELb1EJPfPiS1_jEEvDpT3_: ; @_Z6kernelI27subtract_right_partial_tileLj256ELj4ELb1EJPfPiS1_jEEvDpT3_
; %bb.0:
	s_load_dwordx4 s[8:11], s[4:5], 0x0
	s_load_dwordx2 s[0:1], s[4:5], 0x10
	s_lshl_b32 s12, s6, 10
	s_mov_b32 s13, 0
	s_lshl_b64 s[2:3], s[12:13], 2
	s_waitcnt lgkmcnt(0)
	s_add_u32 s8, s8, s2
	s_addc_u32 s9, s9, s3
	v_lshlrev_b32_e32 v1, 2, v0
	global_load_dword v4, v1, s[8:9]
	global_load_dword v5, v1, s[8:9] offset:1024
	global_load_dword v2, v1, s[8:9] offset:2048
	;; [unrolled: 1-line block ×3, first 2 shown]
	s_load_dword s8, s[4:5], 0x18
	s_mov_b32 s7, s13
	s_lshl_b64 s[4:5], s[6:7], 2
	s_add_u32 s4, s10, s4
	s_addc_u32 s5, s11, s5
	s_waitcnt lgkmcnt(0)
	v_cvt_f32_u32_e32 v6, s8
	s_load_dword s6, s[4:5], 0x0
	s_sub_i32 s4, 0, s8
	v_or_b32_e32 v10, 1, v1
	v_rcp_iflag_f32_e32 v6, v6
	v_or_b32_e32 v11, 2, v1
	v_or_b32_e32 v12, 3, v1
	v_add_u32_e32 v13, 4, v1
	v_mul_f32_e32 v6, 0x4f7ffffe, v6
	v_cvt_u32_f32_e32 v6, v6
	v_or_b32_e32 v14, 0x400, v1
	v_readfirstlane_b32 s5, v6
	s_mul_i32 s4, s4, s5
	s_mul_hi_u32 s4, s5, s4
	s_add_i32 s5, s5, s4
	s_lshr_b32 s4, s5, 22
	s_mul_i32 s5, s4, s8
	s_sub_i32 s5, 0x400, s5
	s_add_i32 s7, s4, 1
	s_sub_i32 s9, s5, s8
	s_cmp_ge_u32 s5, s8
	s_cselect_b32 s4, s7, s4
	s_cselect_b32 s5, s9, s5
	s_add_i32 s7, s4, 1
	s_cmp_ge_u32 s5, s8
	s_cselect_b32 s7, s7, s4
	s_add_i32 s7, s7, 1
	s_max_u32 s8, s8, 1
	s_branch .LBB218_2
.LBB218_1:                              ;   in Loop: Header=BB218_2 Depth=1
	s_or_b64 exec, exec, s[4:5]
	s_add_i32 s4, s7, s6
	s_and_b32 s6, s4, 0x3ff
	s_add_i32 s8, s8, -1
	v_pk_add_f32 v[2:3], v[2:3], v[8:9]
	v_pk_add_f32 v[4:5], v[4:5], v[6:7]
	s_cmp_lg_u32 s8, 0
	s_barrier
	s_cbranch_scc0 .LBB218_4
.LBB218_2:                              ; =>This Inner Loop Header: Depth=1
	s_waitcnt vmcnt(2)
	v_sub_f32_e32 v6, v4, v5
	s_waitcnt lgkmcnt(0)
	v_cmp_gt_u32_e32 vcc, s6, v10
	v_cndmask_b32_e32 v6, v4, v6, vcc
	s_waitcnt vmcnt(1)
	v_sub_f32_e32 v7, v5, v2
	v_cmp_gt_u32_e32 vcc, s6, v11
	v_cndmask_b32_e32 v7, v5, v7, vcc
	s_waitcnt vmcnt(0)
	v_sub_f32_e32 v8, v2, v3
	v_cmp_gt_u32_e32 vcc, s6, v12
	v_cndmask_b32_e32 v8, v2, v8, vcc
	v_cmp_gt_u32_e32 vcc, s6, v13
	v_mov_b32_e32 v9, v3
	ds_write_b32 v1, v4 offset:1024
	s_waitcnt lgkmcnt(0)
	s_barrier
	s_and_saveexec_b64 s[4:5], vcc
	s_cbranch_execz .LBB218_1
; %bb.3:                                ;   in Loop: Header=BB218_2 Depth=1
	ds_read_b32 v9, v14 offset:4
	s_waitcnt lgkmcnt(0)
	v_sub_f32_e32 v9, v3, v9
	s_branch .LBB218_1
.LBB218_4:
	s_add_u32 s0, s0, s2
	s_addc_u32 s1, s1, s3
	v_lshlrev_b32_e32 v0, 2, v0
	global_store_dword v0, v4, s[0:1]
	global_store_dword v0, v5, s[0:1] offset:1024
	global_store_dword v0, v2, s[0:1] offset:2048
	;; [unrolled: 1-line block ×3, first 2 shown]
	s_endpgm
	.section	.rodata,"a",@progbits
	.p2align	6, 0x0
	.amdhsa_kernel _Z6kernelI27subtract_right_partial_tileLj256ELj4ELb1EJPfPiS1_jEEvDpT3_
		.amdhsa_group_segment_fixed_size 2048
		.amdhsa_private_segment_fixed_size 0
		.amdhsa_kernarg_size 28
		.amdhsa_user_sgpr_count 6
		.amdhsa_user_sgpr_private_segment_buffer 1
		.amdhsa_user_sgpr_dispatch_ptr 0
		.amdhsa_user_sgpr_queue_ptr 0
		.amdhsa_user_sgpr_kernarg_segment_ptr 1
		.amdhsa_user_sgpr_dispatch_id 0
		.amdhsa_user_sgpr_flat_scratch_init 0
		.amdhsa_user_sgpr_kernarg_preload_length 0
		.amdhsa_user_sgpr_kernarg_preload_offset 0
		.amdhsa_user_sgpr_private_segment_size 0
		.amdhsa_uses_dynamic_stack 0
		.amdhsa_system_sgpr_private_segment_wavefront_offset 0
		.amdhsa_system_sgpr_workgroup_id_x 1
		.amdhsa_system_sgpr_workgroup_id_y 0
		.amdhsa_system_sgpr_workgroup_id_z 0
		.amdhsa_system_sgpr_workgroup_info 0
		.amdhsa_system_vgpr_workitem_id 0
		.amdhsa_next_free_vgpr 15
		.amdhsa_next_free_sgpr 14
		.amdhsa_accum_offset 16
		.amdhsa_reserve_vcc 1
		.amdhsa_reserve_flat_scratch 0
		.amdhsa_float_round_mode_32 0
		.amdhsa_float_round_mode_16_64 0
		.amdhsa_float_denorm_mode_32 3
		.amdhsa_float_denorm_mode_16_64 3
		.amdhsa_dx10_clamp 1
		.amdhsa_ieee_mode 1
		.amdhsa_fp16_overflow 0
		.amdhsa_tg_split 0
		.amdhsa_exception_fp_ieee_invalid_op 0
		.amdhsa_exception_fp_denorm_src 0
		.amdhsa_exception_fp_ieee_div_zero 0
		.amdhsa_exception_fp_ieee_overflow 0
		.amdhsa_exception_fp_ieee_underflow 0
		.amdhsa_exception_fp_ieee_inexact 0
		.amdhsa_exception_int_div_zero 0
	.end_amdhsa_kernel
	.section	.text._Z6kernelI27subtract_right_partial_tileLj256ELj4ELb1EJPfPiS1_jEEvDpT3_,"axG",@progbits,_Z6kernelI27subtract_right_partial_tileLj256ELj4ELb1EJPfPiS1_jEEvDpT3_,comdat
.Lfunc_end218:
	.size	_Z6kernelI27subtract_right_partial_tileLj256ELj4ELb1EJPfPiS1_jEEvDpT3_, .Lfunc_end218-_Z6kernelI27subtract_right_partial_tileLj256ELj4ELb1EJPfPiS1_jEEvDpT3_
                                        ; -- End function
	.section	.AMDGPU.csdata,"",@progbits
; Kernel info:
; codeLenInByte = 436
; NumSgprs: 18
; NumVgprs: 15
; NumAgprs: 0
; TotalNumVgprs: 15
; ScratchSize: 0
; MemoryBound: 0
; FloatMode: 240
; IeeeMode: 1
; LDSByteSize: 2048 bytes/workgroup (compile time only)
; SGPRBlocks: 2
; VGPRBlocks: 1
; NumSGPRsForWavesPerEU: 18
; NumVGPRsForWavesPerEU: 15
; AccumOffset: 16
; Occupancy: 8
; WaveLimiterHint : 1
; COMPUTE_PGM_RSRC2:SCRATCH_EN: 0
; COMPUTE_PGM_RSRC2:USER_SGPR: 6
; COMPUTE_PGM_RSRC2:TRAP_HANDLER: 0
; COMPUTE_PGM_RSRC2:TGID_X_EN: 1
; COMPUTE_PGM_RSRC2:TGID_Y_EN: 0
; COMPUTE_PGM_RSRC2:TGID_Z_EN: 0
; COMPUTE_PGM_RSRC2:TIDIG_COMP_CNT: 0
; COMPUTE_PGM_RSRC3_GFX90A:ACCUM_OFFSET: 3
; COMPUTE_PGM_RSRC3_GFX90A:TG_SPLIT: 0
	.section	.text._Z6kernelI27subtract_right_partial_tileLj256ELj8ELb1EJPfPiS1_jEEvDpT3_,"axG",@progbits,_Z6kernelI27subtract_right_partial_tileLj256ELj8ELb1EJPfPiS1_jEEvDpT3_,comdat
	.protected	_Z6kernelI27subtract_right_partial_tileLj256ELj8ELb1EJPfPiS1_jEEvDpT3_ ; -- Begin function _Z6kernelI27subtract_right_partial_tileLj256ELj8ELb1EJPfPiS1_jEEvDpT3_
	.globl	_Z6kernelI27subtract_right_partial_tileLj256ELj8ELb1EJPfPiS1_jEEvDpT3_
	.p2align	8
	.type	_Z6kernelI27subtract_right_partial_tileLj256ELj8ELb1EJPfPiS1_jEEvDpT3_,@function
_Z6kernelI27subtract_right_partial_tileLj256ELj8ELb1EJPfPiS1_jEEvDpT3_: ; @_Z6kernelI27subtract_right_partial_tileLj256ELj8ELb1EJPfPiS1_jEEvDpT3_
; %bb.0:
	s_load_dwordx4 s[0:3], s[4:5], 0x0
	s_load_dwordx2 s[8:9], s[4:5], 0x10
	s_lshl_b32 s12, s6, 11
	s_mov_b32 s13, 0
	s_lshl_b64 s[10:11], s[12:13], 2
	s_waitcnt lgkmcnt(0)
	s_add_u32 s0, s0, s10
	s_addc_u32 s1, s1, s11
	v_lshlrev_b32_e32 v21, 2, v0
	v_mov_b32_e32 v1, s1
	v_add_co_u32_e32 v4, vcc, s0, v21
	v_addc_co_u32_e32 v1, vcc, 0, v1, vcc
	global_load_dword v2, v21, s[0:1]
	global_load_dword v3, v21, s[0:1] offset:1024
	global_load_dword v15, v21, s[0:1] offset:2048
	;; [unrolled: 1-line block ×3, first 2 shown]
	s_movk_i32 s0, 0x1000
	v_add_co_u32_e32 v16, vcc, s0, v4
	v_addc_co_u32_e32 v17, vcc, 0, v1, vcc
	global_load_dword v13, v[16:17], off
	global_load_dword v9, v[16:17], off offset:1024
	global_load_dword v11, v[16:17], off offset:2048
	;; [unrolled: 1-line block ×3, first 2 shown]
	s_load_dword s4, s[4:5], 0x18
	s_mov_b32 s7, s13
	s_lshl_b64 s[0:1], s[6:7], 2
	s_add_u32 s0, s2, s0
	s_addc_u32 s1, s3, s1
	s_waitcnt lgkmcnt(0)
	v_cvt_f32_u32_e32 v1, s4
	s_load_dword s2, s[0:1], 0x0
	s_sub_i32 s0, 0, s4
	v_lshlrev_b32_e32 v4, 3, v0
	v_rcp_iflag_f32_e32 v1, v1
	v_or_b32_e32 v16, 1, v4
	v_or_b32_e32 v17, 4, v4
	;; [unrolled: 1-line block ×3, first 2 shown]
	v_mul_f32_e32 v1, 0x4f7ffffe, v1
	v_cvt_u32_f32_e32 v1, v1
	v_or_b32_e32 v19, 6, v4
	v_or_b32_e32 v20, 5, v4
	;; [unrolled: 1-line block ×3, first 2 shown]
	v_readfirstlane_b32 s1, v1
	s_mul_i32 s0, s0, s1
	s_mul_hi_u32 s0, s1, s0
	s_add_i32 s1, s1, s0
	s_lshr_b32 s0, s1, 21
	s_mul_i32 s1, s0, s4
	s_sub_i32 s1, 0x800, s1
	s_add_i32 s3, s0, 1
	s_sub_i32 s5, s1, s4
	s_cmp_ge_u32 s1, s4
	s_cselect_b32 s0, s3, s0
	s_cselect_b32 s1, s5, s1
	s_add_i32 s3, s0, 1
	s_cmp_ge_u32 s1, s4
	s_cselect_b32 s3, s3, s0
	s_add_i32 s3, s3, 1
	v_or_b32_e32 v1, 2, v4
	v_add_u32_e32 v25, 8, v4
	v_or_b32_e32 v26, 0x400, v21
	s_max_u32 s4, s4, 1
	s_branch .LBB219_2
.LBB219_1:                              ;   in Loop: Header=BB219_2 Depth=1
	s_or_b64 exec, exec, s[0:1]
	v_mov_b32_e32 v14, v3
	v_pk_add_f32 v[28:29], v[2:3], v[14:15] neg_lo:[0,1] neg_hi:[0,1]
	v_cmp_gt_u32_e32 vcc, s2, v1
	v_cndmask_b32_e32 v29, v3, v29, vcc
	v_cmp_gt_u32_e32 vcc, s2, v16
	v_mov_b32_e32 v4, v15
	v_mov_b32_e32 v12, v5
	v_cndmask_b32_e32 v28, v2, v28, vcc
	v_pk_add_f32 v[30:31], v[4:5], v[12:13] neg_lo:[0,1] neg_hi:[0,1]
	v_cmp_gt_u32_e32 vcc, s2, v17
	v_cndmask_b32_e32 v31, v5, v31, vcc
	v_cmp_gt_u32_e32 vcc, s2, v18
	v_mov_b32_e32 v8, v13
	v_mov_b32_e32 v10, v9
	v_cndmask_b32_e32 v30, v15, v30, vcc
	v_pk_add_f32 v[14:15], v[8:9], v[10:11] neg_lo:[0,1] neg_hi:[0,1]
	v_cmp_gt_u32_e32 vcc, s2, v19
	v_cndmask_b32_e32 v15, v9, v15, vcc
	v_cmp_gt_u32_e32 vcc, s2, v20
	v_cndmask_b32_e32 v14, v13, v14, vcc
	v_sub_f32_e32 v6, v11, v7
	v_cmp_gt_u32_e32 vcc, s2, v24
	v_cndmask_b32_e32 v22, v11, v6, vcc
	v_mov_b32_e32 v6, v11
	s_add_i32 s0, s3, s2
	v_pk_add_f32 v[4:5], v[4:5], v[30:31]
	v_pk_add_f32 v[8:9], v[8:9], v[14:15]
	;; [unrolled: 1-line block ×3, first 2 shown]
	s_and_b32 s2, s0, 0x7ff
	s_add_i32 s4, s4, -1
	v_pk_add_f32 v[2:3], v[2:3], v[28:29]
	s_cmp_lg_u32 s4, 0
	v_mov_b32_e32 v15, v4
	v_mov_b32_e32 v13, v8
	;; [unrolled: 1-line block ×3, first 2 shown]
	s_barrier
	s_cbranch_scc0 .LBB219_4
.LBB219_2:                              ; =>This Inner Loop Header: Depth=1
	s_waitcnt lgkmcnt(0)
	v_cmp_gt_u32_e32 vcc, s2, v25
	s_waitcnt vmcnt(0)
	v_mov_b32_e32 v23, v7
	ds_write_b32 v21, v2 offset:1024
	s_waitcnt lgkmcnt(0)
	s_barrier
	s_and_saveexec_b64 s[0:1], vcc
	s_cbranch_execz .LBB219_1
; %bb.3:                                ;   in Loop: Header=BB219_2 Depth=1
	ds_read_b32 v4, v26 offset:4
	s_waitcnt lgkmcnt(0)
	v_sub_f32_e32 v23, v7, v4
	s_branch .LBB219_1
.LBB219_4:
	s_add_u32 s0, s8, s10
	s_addc_u32 s1, s9, s11
	v_lshlrev_b32_e32 v0, 2, v0
	v_mov_b32_e32 v1, s1
	v_add_co_u32_e32 v10, vcc, s0, v0
	v_addc_co_u32_e32 v1, vcc, 0, v1, vcc
	global_store_dword v0, v2, s[0:1]
	global_store_dword v0, v3, s[0:1] offset:1024
	global_store_dword v0, v4, s[0:1] offset:2048
	;; [unrolled: 1-line block ×3, first 2 shown]
	v_add_co_u32_e32 v0, vcc, 0x1000, v10
	v_addc_co_u32_e32 v1, vcc, 0, v1, vcc
	global_store_dword v[0:1], v8, off
	global_store_dword v[0:1], v9, off offset:1024
	global_store_dword v[0:1], v6, off offset:2048
	;; [unrolled: 1-line block ×3, first 2 shown]
	s_endpgm
	.section	.rodata,"a",@progbits
	.p2align	6, 0x0
	.amdhsa_kernel _Z6kernelI27subtract_right_partial_tileLj256ELj8ELb1EJPfPiS1_jEEvDpT3_
		.amdhsa_group_segment_fixed_size 2048
		.amdhsa_private_segment_fixed_size 0
		.amdhsa_kernarg_size 28
		.amdhsa_user_sgpr_count 6
		.amdhsa_user_sgpr_private_segment_buffer 1
		.amdhsa_user_sgpr_dispatch_ptr 0
		.amdhsa_user_sgpr_queue_ptr 0
		.amdhsa_user_sgpr_kernarg_segment_ptr 1
		.amdhsa_user_sgpr_dispatch_id 0
		.amdhsa_user_sgpr_flat_scratch_init 0
		.amdhsa_user_sgpr_kernarg_preload_length 0
		.amdhsa_user_sgpr_kernarg_preload_offset 0
		.amdhsa_user_sgpr_private_segment_size 0
		.amdhsa_uses_dynamic_stack 0
		.amdhsa_system_sgpr_private_segment_wavefront_offset 0
		.amdhsa_system_sgpr_workgroup_id_x 1
		.amdhsa_system_sgpr_workgroup_id_y 0
		.amdhsa_system_sgpr_workgroup_id_z 0
		.amdhsa_system_sgpr_workgroup_info 0
		.amdhsa_system_vgpr_workitem_id 0
		.amdhsa_next_free_vgpr 32
		.amdhsa_next_free_sgpr 14
		.amdhsa_accum_offset 32
		.amdhsa_reserve_vcc 1
		.amdhsa_reserve_flat_scratch 0
		.amdhsa_float_round_mode_32 0
		.amdhsa_float_round_mode_16_64 0
		.amdhsa_float_denorm_mode_32 3
		.amdhsa_float_denorm_mode_16_64 3
		.amdhsa_dx10_clamp 1
		.amdhsa_ieee_mode 1
		.amdhsa_fp16_overflow 0
		.amdhsa_tg_split 0
		.amdhsa_exception_fp_ieee_invalid_op 0
		.amdhsa_exception_fp_denorm_src 0
		.amdhsa_exception_fp_ieee_div_zero 0
		.amdhsa_exception_fp_ieee_overflow 0
		.amdhsa_exception_fp_ieee_underflow 0
		.amdhsa_exception_fp_ieee_inexact 0
		.amdhsa_exception_int_div_zero 0
	.end_amdhsa_kernel
	.section	.text._Z6kernelI27subtract_right_partial_tileLj256ELj8ELb1EJPfPiS1_jEEvDpT3_,"axG",@progbits,_Z6kernelI27subtract_right_partial_tileLj256ELj8ELb1EJPfPiS1_jEEvDpT3_,comdat
.Lfunc_end219:
	.size	_Z6kernelI27subtract_right_partial_tileLj256ELj8ELb1EJPfPiS1_jEEvDpT3_, .Lfunc_end219-_Z6kernelI27subtract_right_partial_tileLj256ELj8ELb1EJPfPiS1_jEEvDpT3_
                                        ; -- End function
	.section	.AMDGPU.csdata,"",@progbits
; Kernel info:
; codeLenInByte = 660
; NumSgprs: 18
; NumVgprs: 32
; NumAgprs: 0
; TotalNumVgprs: 32
; ScratchSize: 0
; MemoryBound: 0
; FloatMode: 240
; IeeeMode: 1
; LDSByteSize: 2048 bytes/workgroup (compile time only)
; SGPRBlocks: 2
; VGPRBlocks: 3
; NumSGPRsForWavesPerEU: 18
; NumVGPRsForWavesPerEU: 32
; AccumOffset: 32
; Occupancy: 8
; WaveLimiterHint : 1
; COMPUTE_PGM_RSRC2:SCRATCH_EN: 0
; COMPUTE_PGM_RSRC2:USER_SGPR: 6
; COMPUTE_PGM_RSRC2:TRAP_HANDLER: 0
; COMPUTE_PGM_RSRC2:TGID_X_EN: 1
; COMPUTE_PGM_RSRC2:TGID_Y_EN: 0
; COMPUTE_PGM_RSRC2:TGID_Z_EN: 0
; COMPUTE_PGM_RSRC2:TIDIG_COMP_CNT: 0
; COMPUTE_PGM_RSRC3_GFX90A:ACCUM_OFFSET: 7
; COMPUTE_PGM_RSRC3_GFX90A:TG_SPLIT: 0
	.section	.text._Z6kernelI27subtract_right_partial_tileLj256ELj16ELb1EJPfPiS1_jEEvDpT3_,"axG",@progbits,_Z6kernelI27subtract_right_partial_tileLj256ELj16ELb1EJPfPiS1_jEEvDpT3_,comdat
	.protected	_Z6kernelI27subtract_right_partial_tileLj256ELj16ELb1EJPfPiS1_jEEvDpT3_ ; -- Begin function _Z6kernelI27subtract_right_partial_tileLj256ELj16ELb1EJPfPiS1_jEEvDpT3_
	.globl	_Z6kernelI27subtract_right_partial_tileLj256ELj16ELb1EJPfPiS1_jEEvDpT3_
	.p2align	8
	.type	_Z6kernelI27subtract_right_partial_tileLj256ELj16ELb1EJPfPiS1_jEEvDpT3_,@function
_Z6kernelI27subtract_right_partial_tileLj256ELj16ELb1EJPfPiS1_jEEvDpT3_: ; @_Z6kernelI27subtract_right_partial_tileLj256ELj16ELb1EJPfPiS1_jEEvDpT3_
; %bb.0:
	s_load_dwordx4 s[0:3], s[4:5], 0x0
	s_load_dwordx2 s[8:9], s[4:5], 0x10
	s_lshl_b32 s12, s6, 12
	s_mov_b32 s13, 0
	s_lshl_b64 s[10:11], s[12:13], 2
	s_waitcnt lgkmcnt(0)
	s_add_u32 s0, s0, s10
	s_addc_u32 s1, s1, s11
	v_lshlrev_b32_e32 v31, 2, v0
	v_mov_b32_e32 v1, s1
	v_add_co_u32_e32 v12, vcc, s0, v31
	v_addc_co_u32_e32 v1, vcc, 0, v1, vcc
	global_load_dword v5, v31, s[0:1]
	global_load_dword v4, v31, s[0:1] offset:1024
	global_load_dword v3, v31, s[0:1] offset:2048
	;; [unrolled: 1-line block ×3, first 2 shown]
	s_movk_i32 s0, 0x1000
	v_add_co_u32_e32 v18, vcc, s0, v12
	v_addc_co_u32_e32 v19, vcc, 0, v1, vcc
	s_movk_i32 s0, 0x2000
	v_add_co_u32_e32 v10, vcc, s0, v12
	v_addc_co_u32_e32 v11, vcc, 0, v1, vcc
	s_movk_i32 s0, 0x3000
	v_add_co_u32_e32 v20, vcc, s0, v12
	global_load_dword v15, v[10:11], off offset:-4096
	global_load_dword v9, v[10:11], off
	global_load_dword v8, v[10:11], off offset:1024
	global_load_dword v7, v[10:11], off offset:2048
	;; [unrolled: 1-line block ×3, first 2 shown]
	v_addc_co_u32_e32 v21, vcc, 0, v1, vcc
	global_load_dword v14, v[18:19], off offset:1024
	global_load_dword v17, v[18:19], off offset:2048
	;; [unrolled: 1-line block ×3, first 2 shown]
	global_load_dword v13, v[20:21], off
	global_load_dword v12, v[20:21], off offset:1024
	global_load_dword v11, v[20:21], off offset:2048
	;; [unrolled: 1-line block ×3, first 2 shown]
	s_load_dword s4, s[4:5], 0x18
	s_mov_b32 s7, s13
	s_lshl_b64 s[0:1], s[6:7], 2
	s_add_u32 s0, s2, s0
	s_addc_u32 s1, s3, s1
	s_waitcnt lgkmcnt(0)
	v_cvt_f32_u32_e32 v1, s4
	s_load_dword s2, s[0:1], 0x0
	s_sub_i32 s0, 0, s4
	v_lshlrev_b32_e32 v32, 4, v0
	v_rcp_iflag_f32_e32 v1, v1
	v_or_b32_e32 v18, 2, v32
	v_or_b32_e32 v19, 3, v32
	;; [unrolled: 1-line block ×3, first 2 shown]
	v_mul_f32_e32 v1, 0x4f7ffffe, v1
	v_cvt_u32_f32_e32 v1, v1
	v_or_b32_e32 v21, 5, v32
	v_or_b32_e32 v22, 6, v32
	;; [unrolled: 1-line block ×3, first 2 shown]
	v_readfirstlane_b32 s1, v1
	s_mul_i32 s0, s0, s1
	s_mul_hi_u32 s0, s1, s0
	s_add_i32 s1, s1, s0
	s_lshr_b32 s0, s1, 20
	s_mul_i32 s1, s0, s4
	s_sub_i32 s1, 0x1000, s1
	s_add_i32 s3, s0, 1
	s_sub_i32 s5, s1, s4
	s_cmp_ge_u32 s1, s4
	s_cselect_b32 s0, s3, s0
	s_cselect_b32 s1, s5, s1
	s_add_i32 s3, s0, 1
	s_cmp_ge_u32 s1, s4
	s_cselect_b32 s3, s3, s0
	s_add_i32 s3, s3, 1
	v_or_b32_e32 v1, 1, v32
	v_or_b32_e32 v24, 8, v32
	v_or_b32_e32 v25, 9, v32
	v_or_b32_e32 v26, 10, v32
	v_or_b32_e32 v27, 11, v32
	v_or_b32_e32 v28, 12, v32
	v_or_b32_e32 v29, 13, v32
	v_or_b32_e32 v30, 14, v32
	v_or_b32_e32 v34, 15, v32
	v_add_u32_e32 v35, 16, v32
	v_or_b32_e32 v36, 0x400, v31
	s_max_u32 s4, s4, 1
	s_branch .LBB220_2
.LBB220_1:                              ;   in Loop: Header=BB220_2 Depth=1
	s_or_b64 exec, exec, s[0:1]
	v_mov_b32_e32 v38, v3
	v_mov_b32_e32 v39, v4
	v_pk_add_f32 v[38:39], v[4:5], v[38:39] neg_lo:[0,1] neg_hi:[0,1]
	v_cmp_gt_u32_e32 vcc, s2, v1
	v_cndmask_b32_e32 v39, v5, v39, vcc
	v_cmp_gt_u32_e32 vcc, s2, v18
	v_mov_b32_e32 v40, v15
	v_mov_b32_e32 v41, v2
	v_cndmask_b32_e32 v38, v4, v38, vcc
	v_pk_add_f32 v[40:41], v[2:3], v[40:41] neg_lo:[0,1] neg_hi:[0,1]
	v_cmp_gt_u32_e32 vcc, s2, v19
	v_cndmask_b32_e32 v41, v3, v41, vcc
	v_cmp_gt_u32_e32 vcc, s2, v20
	v_mov_b32_e32 v42, v17
	v_mov_b32_e32 v43, v14
	v_cndmask_b32_e32 v40, v2, v40, vcc
	;; [unrolled: 7-line block ×5, first 2 shown]
	v_pk_add_f32 v[48:49], v[6:7], v[48:49] neg_lo:[0,1] neg_hi:[0,1]
	v_cmp_gt_u32_e32 vcc, s2, v28
	v_cmp_gt_u32_e64 s[0:1], s2, v27
	v_mov_b32_e32 v50, v11
	v_mov_b32_e32 v51, v12
	v_cndmask_b32_e64 v49, v7, v49, s[0:1]
	v_cndmask_b32_e32 v48, v6, v48, vcc
	v_pk_add_f32 v[50:51], v[12:13], v[50:51] neg_lo:[0,1] neg_hi:[0,1]
	v_cmp_gt_u32_e32 vcc, s2, v30
	v_cmp_gt_u32_e64 s[0:1], s2, v29
	v_cndmask_b32_e64 v51, v13, v51, s[0:1]
	v_cndmask_b32_e32 v50, v12, v50, vcc
	v_sub_f32_e32 v33, v11, v10
	v_cmp_gt_u32_e32 vcc, s2, v34
	s_add_i32 s0, s3, s2
	v_cndmask_b32_e32 v33, v11, v33, vcc
	s_and_b32 s2, s0, 0xfff
	s_add_i32 s4, s4, -1
	v_pk_add_f32 v[4:5], v[4:5], v[38:39]
	v_pk_add_f32 v[2:3], v[2:3], v[40:41]
	;; [unrolled: 1-line block ×8, first 2 shown]
	s_cmp_lg_u32 s4, 0
	s_barrier
	s_cbranch_scc0 .LBB220_4
.LBB220_2:                              ; =>This Inner Loop Header: Depth=1
	s_waitcnt lgkmcnt(0)
	v_cmp_gt_u32_e32 vcc, s2, v35
	s_waitcnt vmcnt(0)
	v_pk_mov_b32 v[32:33], v[10:11], v[10:11] op_sel:[0,1]
	ds_write_b32 v31, v5 offset:1024
	s_waitcnt lgkmcnt(0)
	s_barrier
	s_and_saveexec_b64 s[0:1], vcc
	s_cbranch_execz .LBB220_1
; %bb.3:                                ;   in Loop: Header=BB220_2 Depth=1
	ds_read_b32 v32, v36 offset:4
	s_waitcnt lgkmcnt(0)
	v_sub_f32_e32 v32, v10, v32
	s_branch .LBB220_1
.LBB220_4:
	s_add_u32 s0, s8, s10
	s_addc_u32 s1, s9, s11
	v_lshlrev_b32_e32 v0, 2, v0
	v_mov_b32_e32 v1, s1
	v_add_co_u32_e32 v18, vcc, s0, v0
	v_addc_co_u32_e32 v19, vcc, 0, v1, vcc
	global_store_dword v0, v5, s[0:1]
	global_store_dword v0, v4, s[0:1] offset:1024
	global_store_dword v0, v3, s[0:1] offset:2048
	;; [unrolled: 1-line block ×3, first 2 shown]
	v_add_co_u32_e32 v0, vcc, 0x1000, v18
	v_addc_co_u32_e32 v1, vcc, 0, v19, vcc
	global_store_dword v[0:1], v15, off
	global_store_dword v[0:1], v14, off offset:1024
	global_store_dword v[0:1], v17, off offset:2048
	global_store_dword v[0:1], v16, off offset:3072
	v_add_co_u32_e32 v0, vcc, 0x2000, v18
	v_addc_co_u32_e32 v1, vcc, 0, v19, vcc
	global_store_dword v[0:1], v9, off
	global_store_dword v[0:1], v8, off offset:1024
	global_store_dword v[0:1], v7, off offset:2048
	global_store_dword v[0:1], v6, off offset:3072
	;; [unrolled: 6-line block ×3, first 2 shown]
	s_endpgm
	.section	.rodata,"a",@progbits
	.p2align	6, 0x0
	.amdhsa_kernel _Z6kernelI27subtract_right_partial_tileLj256ELj16ELb1EJPfPiS1_jEEvDpT3_
		.amdhsa_group_segment_fixed_size 2048
		.amdhsa_private_segment_fixed_size 0
		.amdhsa_kernarg_size 28
		.amdhsa_user_sgpr_count 6
		.amdhsa_user_sgpr_private_segment_buffer 1
		.amdhsa_user_sgpr_dispatch_ptr 0
		.amdhsa_user_sgpr_queue_ptr 0
		.amdhsa_user_sgpr_kernarg_segment_ptr 1
		.amdhsa_user_sgpr_dispatch_id 0
		.amdhsa_user_sgpr_flat_scratch_init 0
		.amdhsa_user_sgpr_kernarg_preload_length 0
		.amdhsa_user_sgpr_kernarg_preload_offset 0
		.amdhsa_user_sgpr_private_segment_size 0
		.amdhsa_uses_dynamic_stack 0
		.amdhsa_system_sgpr_private_segment_wavefront_offset 0
		.amdhsa_system_sgpr_workgroup_id_x 1
		.amdhsa_system_sgpr_workgroup_id_y 0
		.amdhsa_system_sgpr_workgroup_id_z 0
		.amdhsa_system_sgpr_workgroup_info 0
		.amdhsa_system_vgpr_workitem_id 0
		.amdhsa_next_free_vgpr 52
		.amdhsa_next_free_sgpr 14
		.amdhsa_accum_offset 52
		.amdhsa_reserve_vcc 1
		.amdhsa_reserve_flat_scratch 0
		.amdhsa_float_round_mode_32 0
		.amdhsa_float_round_mode_16_64 0
		.amdhsa_float_denorm_mode_32 3
		.amdhsa_float_denorm_mode_16_64 3
		.amdhsa_dx10_clamp 1
		.amdhsa_ieee_mode 1
		.amdhsa_fp16_overflow 0
		.amdhsa_tg_split 0
		.amdhsa_exception_fp_ieee_invalid_op 0
		.amdhsa_exception_fp_denorm_src 0
		.amdhsa_exception_fp_ieee_div_zero 0
		.amdhsa_exception_fp_ieee_overflow 0
		.amdhsa_exception_fp_ieee_underflow 0
		.amdhsa_exception_fp_ieee_inexact 0
		.amdhsa_exception_int_div_zero 0
	.end_amdhsa_kernel
	.section	.text._Z6kernelI27subtract_right_partial_tileLj256ELj16ELb1EJPfPiS1_jEEvDpT3_,"axG",@progbits,_Z6kernelI27subtract_right_partial_tileLj256ELj16ELb1EJPfPiS1_jEEvDpT3_,comdat
.Lfunc_end220:
	.size	_Z6kernelI27subtract_right_partial_tileLj256ELj16ELb1EJPfPiS1_jEEvDpT3_, .Lfunc_end220-_Z6kernelI27subtract_right_partial_tileLj256ELj16ELb1EJPfPiS1_jEEvDpT3_
                                        ; -- End function
	.section	.AMDGPU.csdata,"",@progbits
; Kernel info:
; codeLenInByte = 1036
; NumSgprs: 18
; NumVgprs: 52
; NumAgprs: 0
; TotalNumVgprs: 52
; ScratchSize: 0
; MemoryBound: 0
; FloatMode: 240
; IeeeMode: 1
; LDSByteSize: 2048 bytes/workgroup (compile time only)
; SGPRBlocks: 2
; VGPRBlocks: 6
; NumSGPRsForWavesPerEU: 18
; NumVGPRsForWavesPerEU: 52
; AccumOffset: 52
; Occupancy: 8
; WaveLimiterHint : 1
; COMPUTE_PGM_RSRC2:SCRATCH_EN: 0
; COMPUTE_PGM_RSRC2:USER_SGPR: 6
; COMPUTE_PGM_RSRC2:TRAP_HANDLER: 0
; COMPUTE_PGM_RSRC2:TGID_X_EN: 1
; COMPUTE_PGM_RSRC2:TGID_Y_EN: 0
; COMPUTE_PGM_RSRC2:TGID_Z_EN: 0
; COMPUTE_PGM_RSRC2:TIDIG_COMP_CNT: 0
; COMPUTE_PGM_RSRC3_GFX90A:ACCUM_OFFSET: 12
; COMPUTE_PGM_RSRC3_GFX90A:TG_SPLIT: 0
	.section	.text._Z6kernelI27subtract_right_partial_tileLj256ELj32ELb1EJPfPiS1_jEEvDpT3_,"axG",@progbits,_Z6kernelI27subtract_right_partial_tileLj256ELj32ELb1EJPfPiS1_jEEvDpT3_,comdat
	.protected	_Z6kernelI27subtract_right_partial_tileLj256ELj32ELb1EJPfPiS1_jEEvDpT3_ ; -- Begin function _Z6kernelI27subtract_right_partial_tileLj256ELj32ELb1EJPfPiS1_jEEvDpT3_
	.globl	_Z6kernelI27subtract_right_partial_tileLj256ELj32ELb1EJPfPiS1_jEEvDpT3_
	.p2align	8
	.type	_Z6kernelI27subtract_right_partial_tileLj256ELj32ELb1EJPfPiS1_jEEvDpT3_,@function
_Z6kernelI27subtract_right_partial_tileLj256ELj32ELb1EJPfPiS1_jEEvDpT3_: ; @_Z6kernelI27subtract_right_partial_tileLj256ELj32ELb1EJPfPiS1_jEEvDpT3_
; %bb.0:
	s_load_dwordx4 s[0:3], s[4:5], 0x0
	s_load_dwordx2 s[8:9], s[4:5], 0x10
	s_lshl_b32 s12, s6, 13
	s_mov_b32 s13, 0
	s_lshl_b64 s[10:11], s[12:13], 2
	s_waitcnt lgkmcnt(0)
	s_add_u32 s0, s0, s10
	s_addc_u32 s1, s1, s11
	v_lshlrev_b32_e32 v63, 2, v0
	v_mov_b32_e32 v1, s1
	v_add_co_u32_e32 v18, vcc, s0, v63
	v_addc_co_u32_e32 v1, vcc, 0, v1, vcc
	global_load_dword v5, v63, s[0:1]
	global_load_dword v4, v63, s[0:1] offset:1024
	global_load_dword v3, v63, s[0:1] offset:2048
	;; [unrolled: 1-line block ×3, first 2 shown]
	s_movk_i32 s0, 0x1000
	v_add_co_u32_e32 v22, vcc, s0, v18
	v_addc_co_u32_e32 v23, vcc, 0, v1, vcc
	s_movk_i32 s0, 0x2000
	v_add_co_u32_e32 v14, vcc, s0, v18
	v_addc_co_u32_e32 v15, vcc, 0, v1, vcc
	;; [unrolled: 3-line block ×5, first 2 shown]
	s_movk_i32 s0, 0x6000
	v_add_co_u32_e32 v38, vcc, s0, v18
	global_load_dword v27, v[14:15], off offset:-4096
	global_load_dword v13, v[14:15], off
	global_load_dword v12, v[14:15], off offset:1024
	global_load_dword v11, v[14:15], off offset:2048
	;; [unrolled: 1-line block ×3, first 2 shown]
	global_load_dword v9, v[34:35], off offset:-4096
	global_load_dword v7, v[34:35], off
	global_load_dword v6, v[34:35], off offset:1024
	v_addc_co_u32_e32 v39, vcc, 0, v1, vcc
	global_load_dword v26, v[22:23], off offset:1024
	global_load_dword v33, v[22:23], off offset:2048
	;; [unrolled: 1-line block ×10, first 2 shown]
	global_load_dword v21, v[38:39], off offset:-4096
	global_load_dword v17, v[38:39], off
	global_load_dword v16, v[38:39], off offset:1024
	global_load_dword v15, v[38:39], off offset:2048
	;; [unrolled: 1-line block ×3, first 2 shown]
	s_movk_i32 s0, 0x7000
	v_add_co_u32_e32 v34, vcc, s0, v18
	v_addc_co_u32_e32 v35, vcc, 0, v1, vcc
	global_load_dword v18, v[36:37], off offset:3072
	global_load_dword v25, v[34:35], off
	global_load_dword v24, v[34:35], off offset:1024
	global_load_dword v23, v[34:35], off offset:2048
	;; [unrolled: 1-line block ×3, first 2 shown]
	s_load_dword s4, s[4:5], 0x18
	s_mov_b32 s7, s13
	s_lshl_b64 s[0:1], s[6:7], 2
	s_add_u32 s0, s2, s0
	s_addc_u32 s1, s3, s1
	s_waitcnt lgkmcnt(0)
	v_cvt_f32_u32_e32 v1, s4
	s_load_dword s2, s[0:1], 0x0
	s_sub_i32 s0, 0, s4
	v_lshlrev_b32_e32 v62, 5, v0
	v_rcp_iflag_f32_e32 v1, v1
	v_or_b32_e32 v34, 2, v62
	v_or_b32_e32 v35, 3, v62
	;; [unrolled: 1-line block ×3, first 2 shown]
	v_mul_f32_e32 v1, 0x4f7ffffe, v1
	v_cvt_u32_f32_e32 v1, v1
	v_or_b32_e32 v37, 5, v62
	v_or_b32_e32 v38, 6, v62
	;; [unrolled: 1-line block ×3, first 2 shown]
	v_readfirstlane_b32 s1, v1
	s_mul_i32 s0, s0, s1
	s_mul_hi_u32 s0, s1, s0
	s_add_i32 s1, s1, s0
	s_lshr_b32 s0, s1, 19
	s_mul_i32 s1, s0, s4
	s_sub_i32 s1, 0x2000, s1
	s_add_i32 s3, s0, 1
	s_sub_i32 s5, s1, s4
	s_cmp_ge_u32 s1, s4
	s_cselect_b32 s0, s3, s0
	s_cselect_b32 s1, s5, s1
	s_add_i32 s3, s0, 1
	s_cmp_ge_u32 s1, s4
	s_cselect_b32 s3, s3, s0
	s_add_i32 s3, s3, 1
	v_or_b32_e32 v1, 1, v62
	v_or_b32_e32 v40, 8, v62
	;; [unrolled: 1-line block ×6, first 2 shown]
	v_add_u32_e32 v67, 32, v62
	s_max_u32 s4, s4, 1
	v_or_b32_e32 v44, 12, v62
	v_or_b32_e32 v45, 13, v62
	;; [unrolled: 1-line block ×20, first 2 shown]
	s_branch .LBB221_2
.LBB221_1:                              ;   in Loop: Header=BB221_2 Depth=1
	s_or_b64 exec, exec, s[0:1]
	v_mov_b32_e32 v70, v3
	v_mov_b32_e32 v71, v4
	v_pk_add_f32 v[70:71], v[4:5], v[70:71] neg_lo:[0,1] neg_hi:[0,1]
	v_cmp_gt_u32_e32 vcc, s2, v1
	v_cndmask_b32_e32 v71, v5, v71, vcc
	v_cmp_gt_u32_e32 vcc, s2, v34
	v_mov_b32_e32 v72, v27
	v_mov_b32_e32 v73, v2
	v_cndmask_b32_e32 v70, v4, v70, vcc
	v_pk_add_f32 v[72:73], v[2:3], v[72:73] neg_lo:[0,1] neg_hi:[0,1]
	v_cmp_gt_u32_e32 vcc, s2, v35
	v_cndmask_b32_e32 v73, v3, v73, vcc
	v_cmp_gt_u32_e32 vcc, s2, v36
	v_mov_b32_e32 v74, v33
	v_mov_b32_e32 v75, v26
	v_cndmask_b32_e32 v72, v2, v72, vcc
	;; [unrolled: 7-line block ×13, first 2 shown]
	v_pk_add_f32 v[96:97], v[14:15], v[96:97] neg_lo:[0,1] neg_hi:[0,1]
	v_cmp_gt_u32_e32 vcc, s2, v60
	v_cmp_gt_u32_e64 s[0:1], s2, v59
	v_mov_b32_e32 v98, v23
	v_mov_b32_e32 v99, v24
	v_cndmask_b32_e64 v97, v15, v97, s[0:1]
	v_cndmask_b32_e32 v96, v14, v96, vcc
	v_pk_add_f32 v[98:99], v[24:25], v[98:99] neg_lo:[0,1] neg_hi:[0,1]
	v_cmp_gt_u32_e32 vcc, s2, v62
	v_cmp_gt_u32_e64 s[0:1], s2, v61
	v_cndmask_b32_e64 v99, v25, v99, s[0:1]
	v_cndmask_b32_e32 v98, v24, v98, vcc
	v_sub_f32_e32 v65, v23, v22
	v_cmp_gt_u32_e32 vcc, s2, v66
	s_add_i32 s0, s3, s2
	v_cndmask_b32_e32 v65, v23, v65, vcc
	s_and_b32 s2, s0, 0x1fff
	s_add_i32 s4, s4, -1
	v_pk_add_f32 v[4:5], v[4:5], v[70:71]
	v_pk_add_f32 v[2:3], v[2:3], v[72:73]
	;; [unrolled: 1-line block ×16, first 2 shown]
	s_cmp_lg_u32 s4, 0
	s_barrier
	s_cbranch_scc0 .LBB221_4
.LBB221_2:                              ; =>This Inner Loop Header: Depth=1
	s_waitcnt lgkmcnt(0)
	v_cmp_gt_u32_e32 vcc, s2, v67
	s_waitcnt vmcnt(0)
	v_pk_mov_b32 v[64:65], v[22:23], v[22:23] op_sel:[0,1]
	ds_write_b32 v63, v5 offset:1024
	s_waitcnt lgkmcnt(0)
	s_barrier
	s_and_saveexec_b64 s[0:1], vcc
	s_cbranch_execz .LBB221_1
; %bb.3:                                ;   in Loop: Header=BB221_2 Depth=1
	ds_read_b32 v64, v68 offset:4
	s_waitcnt lgkmcnt(0)
	v_sub_f32_e32 v64, v22, v64
	s_branch .LBB221_1
.LBB221_4:
	s_add_u32 s0, s8, s10
	s_addc_u32 s1, s9, s11
	v_lshlrev_b32_e32 v0, 2, v0
	v_mov_b32_e32 v1, s1
	v_add_co_u32_e32 v34, vcc, s0, v0
	v_addc_co_u32_e32 v35, vcc, 0, v1, vcc
	global_store_dword v0, v5, s[0:1]
	global_store_dword v0, v4, s[0:1] offset:1024
	global_store_dword v0, v3, s[0:1] offset:2048
	;; [unrolled: 1-line block ×3, first 2 shown]
	v_add_co_u32_e32 v0, vcc, 0x1000, v34
	v_addc_co_u32_e32 v1, vcc, 0, v35, vcc
	global_store_dword v[0:1], v27, off
	global_store_dword v[0:1], v26, off offset:1024
	global_store_dword v[0:1], v33, off offset:2048
	global_store_dword v[0:1], v32, off offset:3072
	v_add_co_u32_e32 v0, vcc, 0x2000, v34
	v_addc_co_u32_e32 v1, vcc, 0, v35, vcc
	global_store_dword v[0:1], v13, off
	global_store_dword v[0:1], v12, off offset:1024
	global_store_dword v[0:1], v11, off offset:2048
	global_store_dword v[0:1], v10, off offset:3072
	;; [unrolled: 6-line block ×7, first 2 shown]
	s_endpgm
	.section	.rodata,"a",@progbits
	.p2align	6, 0x0
	.amdhsa_kernel _Z6kernelI27subtract_right_partial_tileLj256ELj32ELb1EJPfPiS1_jEEvDpT3_
		.amdhsa_group_segment_fixed_size 2048
		.amdhsa_private_segment_fixed_size 0
		.amdhsa_kernarg_size 28
		.amdhsa_user_sgpr_count 6
		.amdhsa_user_sgpr_private_segment_buffer 1
		.amdhsa_user_sgpr_dispatch_ptr 0
		.amdhsa_user_sgpr_queue_ptr 0
		.amdhsa_user_sgpr_kernarg_segment_ptr 1
		.amdhsa_user_sgpr_dispatch_id 0
		.amdhsa_user_sgpr_flat_scratch_init 0
		.amdhsa_user_sgpr_kernarg_preload_length 0
		.amdhsa_user_sgpr_kernarg_preload_offset 0
		.amdhsa_user_sgpr_private_segment_size 0
		.amdhsa_uses_dynamic_stack 0
		.amdhsa_system_sgpr_private_segment_wavefront_offset 0
		.amdhsa_system_sgpr_workgroup_id_x 1
		.amdhsa_system_sgpr_workgroup_id_y 0
		.amdhsa_system_sgpr_workgroup_id_z 0
		.amdhsa_system_sgpr_workgroup_info 0
		.amdhsa_system_vgpr_workitem_id 0
		.amdhsa_next_free_vgpr 100
		.amdhsa_next_free_sgpr 14
		.amdhsa_accum_offset 100
		.amdhsa_reserve_vcc 1
		.amdhsa_reserve_flat_scratch 0
		.amdhsa_float_round_mode_32 0
		.amdhsa_float_round_mode_16_64 0
		.amdhsa_float_denorm_mode_32 3
		.amdhsa_float_denorm_mode_16_64 3
		.amdhsa_dx10_clamp 1
		.amdhsa_ieee_mode 1
		.amdhsa_fp16_overflow 0
		.amdhsa_tg_split 0
		.amdhsa_exception_fp_ieee_invalid_op 0
		.amdhsa_exception_fp_denorm_src 0
		.amdhsa_exception_fp_ieee_div_zero 0
		.amdhsa_exception_fp_ieee_overflow 0
		.amdhsa_exception_fp_ieee_underflow 0
		.amdhsa_exception_fp_ieee_inexact 0
		.amdhsa_exception_int_div_zero 0
	.end_amdhsa_kernel
	.section	.text._Z6kernelI27subtract_right_partial_tileLj256ELj32ELb1EJPfPiS1_jEEvDpT3_,"axG",@progbits,_Z6kernelI27subtract_right_partial_tileLj256ELj32ELb1EJPfPiS1_jEEvDpT3_,comdat
.Lfunc_end221:
	.size	_Z6kernelI27subtract_right_partial_tileLj256ELj32ELb1EJPfPiS1_jEEvDpT3_, .Lfunc_end221-_Z6kernelI27subtract_right_partial_tileLj256ELj32ELb1EJPfPiS1_jEEvDpT3_
                                        ; -- End function
	.section	.AMDGPU.csdata,"",@progbits
; Kernel info:
; codeLenInByte = 1772
; NumSgprs: 18
; NumVgprs: 100
; NumAgprs: 0
; TotalNumVgprs: 100
; ScratchSize: 0
; MemoryBound: 0
; FloatMode: 240
; IeeeMode: 1
; LDSByteSize: 2048 bytes/workgroup (compile time only)
; SGPRBlocks: 2
; VGPRBlocks: 12
; NumSGPRsForWavesPerEU: 18
; NumVGPRsForWavesPerEU: 100
; AccumOffset: 100
; Occupancy: 4
; WaveLimiterHint : 1
; COMPUTE_PGM_RSRC2:SCRATCH_EN: 0
; COMPUTE_PGM_RSRC2:USER_SGPR: 6
; COMPUTE_PGM_RSRC2:TRAP_HANDLER: 0
; COMPUTE_PGM_RSRC2:TGID_X_EN: 1
; COMPUTE_PGM_RSRC2:TGID_Y_EN: 0
; COMPUTE_PGM_RSRC2:TGID_Z_EN: 0
; COMPUTE_PGM_RSRC2:TIDIG_COMP_CNT: 0
; COMPUTE_PGM_RSRC3_GFX90A:ACCUM_OFFSET: 24
; COMPUTE_PGM_RSRC3_GFX90A:TG_SPLIT: 0
	.section	.text._Z6kernelI27subtract_right_partial_tileLj256ELj1ELb1EJPaPiS1_jEEvDpT3_,"axG",@progbits,_Z6kernelI27subtract_right_partial_tileLj256ELj1ELb1EJPaPiS1_jEEvDpT3_,comdat
	.protected	_Z6kernelI27subtract_right_partial_tileLj256ELj1ELb1EJPaPiS1_jEEvDpT3_ ; -- Begin function _Z6kernelI27subtract_right_partial_tileLj256ELj1ELb1EJPaPiS1_jEEvDpT3_
	.globl	_Z6kernelI27subtract_right_partial_tileLj256ELj1ELb1EJPaPiS1_jEEvDpT3_
	.p2align	8
	.type	_Z6kernelI27subtract_right_partial_tileLj256ELj1ELb1EJPaPiS1_jEEvDpT3_,@function
_Z6kernelI27subtract_right_partial_tileLj256ELj1ELb1EJPaPiS1_jEEvDpT3_: ; @_Z6kernelI27subtract_right_partial_tileLj256ELj1ELb1EJPaPiS1_jEEvDpT3_
; %bb.0:
	s_load_dwordx4 s[12:15], s[4:5], 0x0
	s_load_dwordx2 s[0:1], s[4:5], 0x10
	s_lshl_b32 s8, s6, 8
	s_load_dword s9, s[4:5], 0x18
	s_mov_b32 s7, 0
	s_waitcnt lgkmcnt(0)
	s_add_u32 s2, s12, s8
	s_addc_u32 s3, s13, 0
	global_load_ubyte v1, v0, s[2:3]
	v_cvt_f32_u32_e32 v2, s9
	s_lshl_b64 s[2:3], s[6:7], 2
	s_add_u32 s2, s14, s2
	s_addc_u32 s3, s15, s3
	v_rcp_iflag_f32_e32 v2, v2
	s_load_dword s4, s[2:3], 0x0
	s_sub_i32 s2, 0, s9
	v_mul_f32_e32 v2, 0x4f7ffffe, v2
	v_cvt_u32_f32_e32 v2, v2
	v_readfirstlane_b32 s3, v2
	s_mul_i32 s2, s2, s3
	s_mul_hi_u32 s2, s3, s2
	s_add_i32 s3, s3, s2
	s_lshr_b32 s2, s3, 24
	s_mul_i32 s3, s2, s9
	s_sub_i32 s3, 0x100, s3
	s_add_i32 s5, s2, 1
	s_sub_i32 s6, s3, s9
	s_cmp_ge_u32 s3, s9
	s_cselect_b32 s2, s5, s2
	s_cselect_b32 s3, s6, s3
	s_add_i32 s5, s2, 1
	s_cmp_ge_u32 s3, s9
	s_cselect_b32 s5, s5, s2
	s_add_i32 s5, s5, 1
	v_add_u32_e32 v2, 1, v0
	s_max_u32 s6, s9, 1
	s_branch .LBB222_2
.LBB222_1:                              ;   in Loop: Header=BB222_2 Depth=1
	s_or_b64 exec, exec, s[2:3]
	s_add_i32 s2, s5, s4
	s_and_b32 s4, s2, 0xff
	s_add_i32 s6, s6, -1
	v_add_u16_e32 v1, v3, v1
	s_cmp_lg_u32 s6, 0
	s_barrier
	s_cbranch_scc0 .LBB222_4
.LBB222_2:                              ; =>This Inner Loop Header: Depth=1
	s_waitcnt lgkmcnt(0)
	v_cmp_gt_u32_e32 vcc, s4, v2
	s_waitcnt vmcnt(0)
	v_mov_b32_e32 v3, v1
	ds_write_b8 v0, v1 offset:256
	s_waitcnt lgkmcnt(0)
	s_barrier
	s_and_saveexec_b64 s[2:3], vcc
	s_cbranch_execz .LBB222_1
; %bb.3:                                ;   in Loop: Header=BB222_2 Depth=1
	ds_read_u8 v3, v0 offset:257
	s_waitcnt lgkmcnt(0)
	v_sub_u16_e32 v3, v1, v3
	s_branch .LBB222_1
.LBB222_4:
	s_add_u32 s0, s0, s8
	s_addc_u32 s1, s1, 0
	v_mov_b32_e32 v3, s1
	v_add_co_u32_e32 v2, vcc, s0, v0
	v_addc_co_u32_e32 v3, vcc, 0, v3, vcc
	global_store_byte v[2:3], v1, off
	s_endpgm
	.section	.rodata,"a",@progbits
	.p2align	6, 0x0
	.amdhsa_kernel _Z6kernelI27subtract_right_partial_tileLj256ELj1ELb1EJPaPiS1_jEEvDpT3_
		.amdhsa_group_segment_fixed_size 512
		.amdhsa_private_segment_fixed_size 0
		.amdhsa_kernarg_size 28
		.amdhsa_user_sgpr_count 6
		.amdhsa_user_sgpr_private_segment_buffer 1
		.amdhsa_user_sgpr_dispatch_ptr 0
		.amdhsa_user_sgpr_queue_ptr 0
		.amdhsa_user_sgpr_kernarg_segment_ptr 1
		.amdhsa_user_sgpr_dispatch_id 0
		.amdhsa_user_sgpr_flat_scratch_init 0
		.amdhsa_user_sgpr_kernarg_preload_length 0
		.amdhsa_user_sgpr_kernarg_preload_offset 0
		.amdhsa_user_sgpr_private_segment_size 0
		.amdhsa_uses_dynamic_stack 0
		.amdhsa_system_sgpr_private_segment_wavefront_offset 0
		.amdhsa_system_sgpr_workgroup_id_x 1
		.amdhsa_system_sgpr_workgroup_id_y 0
		.amdhsa_system_sgpr_workgroup_id_z 0
		.amdhsa_system_sgpr_workgroup_info 0
		.amdhsa_system_vgpr_workitem_id 0
		.amdhsa_next_free_vgpr 4
		.amdhsa_next_free_sgpr 16
		.amdhsa_accum_offset 4
		.amdhsa_reserve_vcc 1
		.amdhsa_reserve_flat_scratch 0
		.amdhsa_float_round_mode_32 0
		.amdhsa_float_round_mode_16_64 0
		.amdhsa_float_denorm_mode_32 3
		.amdhsa_float_denorm_mode_16_64 3
		.amdhsa_dx10_clamp 1
		.amdhsa_ieee_mode 1
		.amdhsa_fp16_overflow 0
		.amdhsa_tg_split 0
		.amdhsa_exception_fp_ieee_invalid_op 0
		.amdhsa_exception_fp_denorm_src 0
		.amdhsa_exception_fp_ieee_div_zero 0
		.amdhsa_exception_fp_ieee_overflow 0
		.amdhsa_exception_fp_ieee_underflow 0
		.amdhsa_exception_fp_ieee_inexact 0
		.amdhsa_exception_int_div_zero 0
	.end_amdhsa_kernel
	.section	.text._Z6kernelI27subtract_right_partial_tileLj256ELj1ELb1EJPaPiS1_jEEvDpT3_,"axG",@progbits,_Z6kernelI27subtract_right_partial_tileLj256ELj1ELb1EJPaPiS1_jEEvDpT3_,comdat
.Lfunc_end222:
	.size	_Z6kernelI27subtract_right_partial_tileLj256ELj1ELb1EJPaPiS1_jEEvDpT3_, .Lfunc_end222-_Z6kernelI27subtract_right_partial_tileLj256ELj1ELb1EJPaPiS1_jEEvDpT3_
                                        ; -- End function
	.section	.AMDGPU.csdata,"",@progbits
; Kernel info:
; codeLenInByte = 304
; NumSgprs: 20
; NumVgprs: 4
; NumAgprs: 0
; TotalNumVgprs: 4
; ScratchSize: 0
; MemoryBound: 0
; FloatMode: 240
; IeeeMode: 1
; LDSByteSize: 512 bytes/workgroup (compile time only)
; SGPRBlocks: 2
; VGPRBlocks: 0
; NumSGPRsForWavesPerEU: 20
; NumVGPRsForWavesPerEU: 4
; AccumOffset: 4
; Occupancy: 8
; WaveLimiterHint : 0
; COMPUTE_PGM_RSRC2:SCRATCH_EN: 0
; COMPUTE_PGM_RSRC2:USER_SGPR: 6
; COMPUTE_PGM_RSRC2:TRAP_HANDLER: 0
; COMPUTE_PGM_RSRC2:TGID_X_EN: 1
; COMPUTE_PGM_RSRC2:TGID_Y_EN: 0
; COMPUTE_PGM_RSRC2:TGID_Z_EN: 0
; COMPUTE_PGM_RSRC2:TIDIG_COMP_CNT: 0
; COMPUTE_PGM_RSRC3_GFX90A:ACCUM_OFFSET: 0
; COMPUTE_PGM_RSRC3_GFX90A:TG_SPLIT: 0
	.section	.text._Z6kernelI27subtract_right_partial_tileLj256ELj3ELb1EJPaPiS1_jEEvDpT3_,"axG",@progbits,_Z6kernelI27subtract_right_partial_tileLj256ELj3ELb1EJPaPiS1_jEEvDpT3_,comdat
	.protected	_Z6kernelI27subtract_right_partial_tileLj256ELj3ELb1EJPaPiS1_jEEvDpT3_ ; -- Begin function _Z6kernelI27subtract_right_partial_tileLj256ELj3ELb1EJPaPiS1_jEEvDpT3_
	.globl	_Z6kernelI27subtract_right_partial_tileLj256ELj3ELb1EJPaPiS1_jEEvDpT3_
	.p2align	8
	.type	_Z6kernelI27subtract_right_partial_tileLj256ELj3ELb1EJPaPiS1_jEEvDpT3_,@function
_Z6kernelI27subtract_right_partial_tileLj256ELj3ELb1EJPaPiS1_jEEvDpT3_: ; @_Z6kernelI27subtract_right_partial_tileLj256ELj3ELb1EJPaPiS1_jEEvDpT3_
; %bb.0:
	s_load_dwordx4 s[0:3], s[4:5], 0x0
	s_load_dwordx2 s[8:9], s[4:5], 0x10
	s_mul_i32 s10, s6, 0x300
	s_load_dword s4, s[4:5], 0x18
	s_mov_b32 s7, 0
	s_waitcnt lgkmcnt(0)
	s_add_u32 s0, s0, s10
	s_addc_u32 s1, s1, 0
	global_load_ubyte v4, v0, s[0:1] offset:256
	global_load_ubyte v5, v0, s[0:1]
	global_load_ubyte v6, v0, s[0:1] offset:512
	v_cvt_f32_u32_e32 v3, s4
	s_lshl_b64 s[0:1], s[6:7], 2
	s_add_u32 s0, s2, s0
	s_addc_u32 s1, s3, s1
	v_rcp_iflag_f32_e32 v7, v3
	s_sub_i32 s3, 0, s4
	s_load_dword s2, s[0:1], 0x0
	v_mad_u32_u24 v1, v0, 3, 1
	v_mul_f32_e32 v7, 0x4f7ffffe, v7
	v_cvt_u32_f32_e32 v7, v7
	v_mad_u32_u24 v2, v0, 3, 2
	v_mad_u32_u24 v3, v0, 3, 3
	v_readfirstlane_b32 s0, v7
	s_mul_i32 s3, s3, s0
	s_mul_hi_u32 s1, s0, s3
	s_add_i32 s0, s0, s1
	s_mul_hi_u32 s0, s0, 0x300
	s_mul_i32 s1, s0, s4
	s_sub_i32 s1, 0x300, s1
	s_add_i32 s3, s0, 1
	s_sub_i32 s5, s1, s4
	s_cmp_ge_u32 s1, s4
	s_cselect_b32 s0, s3, s0
	s_cselect_b32 s1, s5, s1
	s_add_i32 s3, s0, 1
	s_cmp_ge_u32 s1, s4
	s_cselect_b32 s0, s3, s0
	s_max_u32 s3, s4, 1
	s_add_i32 s4, s0, 1
	s_mov_b32 s5, 0xff0000
	s_waitcnt vmcnt(2)
	v_lshlrev_b16_e32 v4, 8, v4
	s_waitcnt vmcnt(1)
	v_or_b32_e32 v4, v5, v4
	v_and_b32_e32 v4, 0xffff, v4
	s_waitcnt vmcnt(0)
	v_lshl_or_b32 v4, v6, 16, v4
                                        ; implicit-def: $vgpr6
	s_branch .LBB223_2
.LBB223_1:                              ;   in Loop: Header=BB223_2 Depth=1
	s_or_b64 exec, exec, s[0:1]
	s_add_i32 s0, s4, s2
	s_mul_hi_u32 s1, s0, 0xaaaaaaab
	v_add_u16_e32 v5, v9, v5
	v_add_u16_e32 v7, v6, v7
	s_lshr_b32 s1, s1, 9
	v_add_u16_e32 v8, v8, v4
	v_lshlrev_b16_e32 v4, 8, v5
	v_and_b32_e32 v9, 0xff, v7
	s_mulk_i32 s1, 0x300
	v_or_b32_sdwa v4, v8, v4 dst_sel:DWORD dst_unused:UNUSED_PAD src0_sel:BYTE_0 src1_sel:DWORD
	v_lshlrev_b32_e32 v9, 16, v9
	s_sub_i32 s2, s0, s1
	s_add_i32 s3, s3, -1
	v_or_b32_sdwa v4, v4, v9 dst_sel:DWORD dst_unused:UNUSED_PAD src0_sel:WORD_0 src1_sel:DWORD
	s_cmp_lg_u32 s3, 0
	s_barrier
	s_cbranch_scc0 .LBB223_4
.LBB223_2:                              ; =>This Inner Loop Header: Depth=1
	v_lshrrev_b32_e32 v5, 8, v4
	v_sub_u16_e32 v8, v4, v5
	s_waitcnt lgkmcnt(0)
	v_cmp_gt_u32_e32 vcc, s2, v1
	v_and_b32_e32 v7, 0xffffff00, v4
	v_cndmask_b32_e32 v8, v4, v8, vcc
	v_or_b32_sdwa v9, v8, v7 dst_sel:DWORD dst_unused:UNUSED_PAD src0_sel:BYTE_0 src1_sel:DWORD
	v_lshrrev_b32_e32 v7, 16, v4
	v_sub_u16_sdwa v10, v5, v7 dst_sel:BYTE_1 dst_unused:UNUSED_PAD src0_sel:DWORD src1_sel:DWORD
	v_or_b32_sdwa v8, v8, v10 dst_sel:DWORD dst_unused:UNUSED_PAD src0_sel:BYTE_0 src1_sel:DWORD
	v_and_b32_e32 v6, 0xff, v6
	v_and_b32_e32 v9, 0xffff, v9
	;; [unrolled: 1-line block ×3, first 2 shown]
	v_cmp_gt_u32_e32 vcc, s2, v2
	v_lshlrev_b32_e32 v6, 16, v6
	v_cndmask_b32_e32 v8, v9, v8, vcc
	v_or_b32_e32 v6, v8, v6
	v_lshrrev_b32_e32 v9, 8, v6
	v_cmp_gt_u32_e32 vcc, s2, v3
	v_mov_b32_e32 v6, v7
	ds_write_b8 v0, v4 offset:256
	s_waitcnt lgkmcnt(0)
	s_barrier
	s_and_saveexec_b64 s[0:1], vcc
	s_cbranch_execz .LBB223_1
; %bb.3:                                ;   in Loop: Header=BB223_2 Depth=1
	ds_read_u8 v6, v0 offset:257
	v_lshlrev_b16_e32 v9, 8, v9
	v_or_b32_sdwa v8, v8, v9 dst_sel:DWORD dst_unused:UNUSED_PAD src0_sel:BYTE_0 src1_sel:DWORD
	v_and_b32_e32 v8, 0xffff, v8
	v_and_or_b32 v8, v4, s5, v8
	s_waitcnt lgkmcnt(0)
	v_sub_u16_e32 v6, v7, v6
	v_lshrrev_b32_e32 v9, 8, v8
	s_branch .LBB223_1
.LBB223_4:
	s_add_u32 s0, s8, s10
	s_addc_u32 s1, s9, 0
	v_mov_b32_e32 v1, s1
	v_add_co_u32_e32 v0, vcc, s0, v0
	v_addc_co_u32_e32 v1, vcc, 0, v1, vcc
	global_store_byte v[0:1], v8, off
	global_store_byte v[0:1], v5, off offset:256
	global_store_byte v[0:1], v7, off offset:512
	s_endpgm
	.section	.rodata,"a",@progbits
	.p2align	6, 0x0
	.amdhsa_kernel _Z6kernelI27subtract_right_partial_tileLj256ELj3ELb1EJPaPiS1_jEEvDpT3_
		.amdhsa_group_segment_fixed_size 512
		.amdhsa_private_segment_fixed_size 0
		.amdhsa_kernarg_size 28
		.amdhsa_user_sgpr_count 6
		.amdhsa_user_sgpr_private_segment_buffer 1
		.amdhsa_user_sgpr_dispatch_ptr 0
		.amdhsa_user_sgpr_queue_ptr 0
		.amdhsa_user_sgpr_kernarg_segment_ptr 1
		.amdhsa_user_sgpr_dispatch_id 0
		.amdhsa_user_sgpr_flat_scratch_init 0
		.amdhsa_user_sgpr_kernarg_preload_length 0
		.amdhsa_user_sgpr_kernarg_preload_offset 0
		.amdhsa_user_sgpr_private_segment_size 0
		.amdhsa_uses_dynamic_stack 0
		.amdhsa_system_sgpr_private_segment_wavefront_offset 0
		.amdhsa_system_sgpr_workgroup_id_x 1
		.amdhsa_system_sgpr_workgroup_id_y 0
		.amdhsa_system_sgpr_workgroup_id_z 0
		.amdhsa_system_sgpr_workgroup_info 0
		.amdhsa_system_vgpr_workitem_id 0
		.amdhsa_next_free_vgpr 11
		.amdhsa_next_free_sgpr 11
		.amdhsa_accum_offset 12
		.amdhsa_reserve_vcc 1
		.amdhsa_reserve_flat_scratch 0
		.amdhsa_float_round_mode_32 0
		.amdhsa_float_round_mode_16_64 0
		.amdhsa_float_denorm_mode_32 3
		.amdhsa_float_denorm_mode_16_64 3
		.amdhsa_dx10_clamp 1
		.amdhsa_ieee_mode 1
		.amdhsa_fp16_overflow 0
		.amdhsa_tg_split 0
		.amdhsa_exception_fp_ieee_invalid_op 0
		.amdhsa_exception_fp_denorm_src 0
		.amdhsa_exception_fp_ieee_div_zero 0
		.amdhsa_exception_fp_ieee_overflow 0
		.amdhsa_exception_fp_ieee_underflow 0
		.amdhsa_exception_fp_ieee_inexact 0
		.amdhsa_exception_int_div_zero 0
	.end_amdhsa_kernel
	.section	.text._Z6kernelI27subtract_right_partial_tileLj256ELj3ELb1EJPaPiS1_jEEvDpT3_,"axG",@progbits,_Z6kernelI27subtract_right_partial_tileLj256ELj3ELb1EJPaPiS1_jEEvDpT3_,comdat
.Lfunc_end223:
	.size	_Z6kernelI27subtract_right_partial_tileLj256ELj3ELb1EJPaPiS1_jEEvDpT3_, .Lfunc_end223-_Z6kernelI27subtract_right_partial_tileLj256ELj3ELb1EJPaPiS1_jEEvDpT3_
                                        ; -- End function
	.section	.AMDGPU.csdata,"",@progbits
; Kernel info:
; codeLenInByte = 584
; NumSgprs: 15
; NumVgprs: 11
; NumAgprs: 0
; TotalNumVgprs: 11
; ScratchSize: 0
; MemoryBound: 0
; FloatMode: 240
; IeeeMode: 1
; LDSByteSize: 512 bytes/workgroup (compile time only)
; SGPRBlocks: 1
; VGPRBlocks: 1
; NumSGPRsForWavesPerEU: 15
; NumVGPRsForWavesPerEU: 11
; AccumOffset: 12
; Occupancy: 8
; WaveLimiterHint : 1
; COMPUTE_PGM_RSRC2:SCRATCH_EN: 0
; COMPUTE_PGM_RSRC2:USER_SGPR: 6
; COMPUTE_PGM_RSRC2:TRAP_HANDLER: 0
; COMPUTE_PGM_RSRC2:TGID_X_EN: 1
; COMPUTE_PGM_RSRC2:TGID_Y_EN: 0
; COMPUTE_PGM_RSRC2:TGID_Z_EN: 0
; COMPUTE_PGM_RSRC2:TIDIG_COMP_CNT: 0
; COMPUTE_PGM_RSRC3_GFX90A:ACCUM_OFFSET: 2
; COMPUTE_PGM_RSRC3_GFX90A:TG_SPLIT: 0
	.section	.text._Z6kernelI27subtract_right_partial_tileLj256ELj4ELb1EJPaPiS1_jEEvDpT3_,"axG",@progbits,_Z6kernelI27subtract_right_partial_tileLj256ELj4ELb1EJPaPiS1_jEEvDpT3_,comdat
	.protected	_Z6kernelI27subtract_right_partial_tileLj256ELj4ELb1EJPaPiS1_jEEvDpT3_ ; -- Begin function _Z6kernelI27subtract_right_partial_tileLj256ELj4ELb1EJPaPiS1_jEEvDpT3_
	.globl	_Z6kernelI27subtract_right_partial_tileLj256ELj4ELb1EJPaPiS1_jEEvDpT3_
	.p2align	8
	.type	_Z6kernelI27subtract_right_partial_tileLj256ELj4ELb1EJPaPiS1_jEEvDpT3_,@function
_Z6kernelI27subtract_right_partial_tileLj256ELj4ELb1EJPaPiS1_jEEvDpT3_: ; @_Z6kernelI27subtract_right_partial_tileLj256ELj4ELb1EJPaPiS1_jEEvDpT3_
; %bb.0:
	s_load_dwordx4 s[0:3], s[4:5], 0x0
	s_load_dwordx2 s[8:9], s[4:5], 0x10
	s_lshl_b32 s10, s6, 10
	s_load_dword s11, s[4:5], 0x18
	s_mov_b32 s7, 0
	s_waitcnt lgkmcnt(0)
	s_add_u32 s0, s0, s10
	s_addc_u32 s1, s1, 0
	global_load_ubyte v5, v0, s[0:1] offset:256
	global_load_ubyte v6, v0, s[0:1] offset:768
	global_load_ubyte v7, v0, s[0:1]
	global_load_ubyte v8, v0, s[0:1] offset:512
	v_cvt_f32_u32_e32 v9, s11
	s_lshl_b64 s[0:1], s[6:7], 2
	s_add_u32 s0, s2, s0
	s_addc_u32 s1, s3, s1
	v_rcp_iflag_f32_e32 v9, v9
	s_sub_i32 s3, 0, s11
	s_load_dword s2, s[0:1], 0x0
	v_lshlrev_b32_e32 v4, 2, v0
	v_mul_f32_e32 v9, 0x4f7ffffe, v9
	v_cvt_u32_f32_e32 v9, v9
	s_mov_b32 s4, 0xffff
	s_movk_i32 s5, 0xff00
	v_or_b32_e32 v1, 1, v4
	v_readfirstlane_b32 s0, v9
	s_mul_i32 s3, s3, s0
	s_mul_hi_u32 s1, s0, s3
	s_add_i32 s0, s0, s1
	s_lshr_b32 s0, s0, 22
	s_mul_i32 s1, s0, s11
	s_sub_i32 s1, 0x400, s1
	s_add_i32 s3, s0, 1
	s_sub_i32 s6, s1, s11
	s_cmp_ge_u32 s1, s11
	s_cselect_b32 s0, s3, s0
	s_cselect_b32 s1, s6, s1
	s_add_i32 s3, s0, 1
	s_cmp_ge_u32 s1, s11
	s_cselect_b32 s6, s3, s0
	v_or_b32_e32 v2, 2, v4
	v_or_b32_e32 v3, 3, v4
	v_add_u32_e32 v4, 4, v4
	s_max_u32 s3, s11, 1
	s_add_i32 s6, s6, 1
	s_movk_i32 s7, 0xff
                                        ; implicit-def: $vgpr9
	s_waitcnt vmcnt(3)
	v_lshlrev_b16_e32 v5, 8, v5
	s_waitcnt vmcnt(2)
	v_lshlrev_b16_e32 v6, 8, v6
	s_waitcnt vmcnt(1)
	v_or_b32_e32 v5, v7, v5
	s_waitcnt vmcnt(0)
	v_or_b32_sdwa v6, v8, v6 dst_sel:WORD_1 dst_unused:UNUSED_PAD src0_sel:DWORD src1_sel:DWORD
	v_or_b32_sdwa v5, v5, v6 dst_sel:DWORD dst_unused:UNUSED_PAD src0_sel:WORD_0 src1_sel:DWORD
	s_branch .LBB224_2
.LBB224_1:                              ;   in Loop: Header=BB224_2 Depth=1
	s_or_b64 exec, exec, s[0:1]
	v_add_u16_e32 v8, v12, v8
	v_add_u16_e32 v6, v9, v6
	;; [unrolled: 1-line block ×3, first 2 shown]
	v_add_u16_sdwa v7, v7, v5 dst_sel:DWORD dst_unused:UNUSED_PAD src0_sel:DWORD src1_sel:WORD_1
	v_lshlrev_b16_e32 v5, 8, v8
	v_lshlrev_b16_e32 v11, 8, v6
	s_add_i32 s0, s6, s2
	v_or_b32_sdwa v5, v10, v5 dst_sel:DWORD dst_unused:UNUSED_PAD src0_sel:BYTE_0 src1_sel:DWORD
	v_or_b32_sdwa v11, v7, v11 dst_sel:WORD_1 dst_unused:UNUSED_PAD src0_sel:BYTE_0 src1_sel:DWORD
	s_and_b32 s2, s0, 0x3ff
	s_add_i32 s3, s3, -1
	v_or_b32_sdwa v5, v5, v11 dst_sel:DWORD dst_unused:UNUSED_PAD src0_sel:WORD_0 src1_sel:DWORD
	s_cmp_lg_u32 s3, 0
	s_barrier
	s_cbranch_scc0 .LBB224_4
.LBB224_2:                              ; =>This Inner Loop Header: Depth=1
	v_lshrrev_b32_e32 v6, 24, v5
	v_and_b32_sdwa v7, v5, s7 dst_sel:DWORD dst_unused:UNUSED_PAD src0_sel:WORD_1 src1_sel:DWORD
	v_lshlrev_b16_e32 v8, 8, v9
	v_sub_u16_sdwa v9, v5, v6 dst_sel:DWORD dst_unused:UNUSED_PAD src0_sel:WORD_1 src1_sel:DWORD
	v_or_b32_sdwa v9, v9, v8 dst_sel:DWORD dst_unused:UNUSED_PAD src0_sel:BYTE_0 src1_sel:DWORD
	v_or_b32_e32 v7, v7, v8
	s_waitcnt lgkmcnt(0)
	v_cmp_gt_u32_e32 vcc, s2, v3
	v_lshrrev_b32_e32 v8, 8, v5
	v_cndmask_b32_e32 v7, v7, v9, vcc
	v_sub_u16_e32 v10, v5, v8
	v_cmp_gt_u32_e32 vcc, s2, v1
	v_and_b32_e32 v9, 0xffffff00, v5
	v_cndmask_b32_e32 v10, v5, v10, vcc
	v_sub_u16_sdwa v11, v8, v5 dst_sel:BYTE_1 dst_unused:UNUSED_PAD src0_sel:DWORD src1_sel:WORD_1
	v_or_b32_sdwa v9, v10, v9 dst_sel:DWORD dst_unused:UNUSED_PAD src0_sel:BYTE_0 src1_sel:DWORD
	v_or_b32_sdwa v10, v10, v11 dst_sel:DWORD dst_unused:UNUSED_PAD src0_sel:BYTE_0 src1_sel:DWORD
	v_and_b32_e32 v9, 0xffff, v9
	v_and_b32_e32 v10, 0xffff, v10
	v_cmp_gt_u32_e32 vcc, s2, v2
	v_cndmask_b32_e32 v10, v9, v10, vcc
	v_lshl_or_b32 v11, v7, 16, v10
	v_lshrrev_b32_e32 v12, 8, v11
	v_cmp_gt_u32_e32 vcc, s2, v4
	v_mov_b32_e32 v9, v6
	ds_write_b8 v0, v5 offset:256
	s_waitcnt lgkmcnt(0)
	s_barrier
	s_and_saveexec_b64 s[0:1], vcc
	s_cbranch_execz .LBB224_1
; %bb.3:                                ;   in Loop: Header=BB224_2 Depth=1
	ds_read_u8 v9, v0 offset:257
	v_and_b32_sdwa v10, v5, s5 dst_sel:DWORD dst_unused:UNUSED_PAD src0_sel:WORD_1 src1_sel:DWORD
	v_or_b32_sdwa v7, v7, v10 dst_sel:WORD_1 dst_unused:UNUSED_PAD src0_sel:BYTE_0 src1_sel:DWORD
	v_and_or_b32 v10, v11, s4, v7
	v_lshrrev_b32_e32 v7, 16, v10
	s_waitcnt lgkmcnt(0)
	v_sub_u16_e32 v9, v6, v9
	v_lshrrev_b32_e32 v12, 8, v10
	s_branch .LBB224_1
.LBB224_4:
	s_add_u32 s0, s8, s10
	s_addc_u32 s1, s9, 0
	v_mov_b32_e32 v1, s1
	v_add_co_u32_e32 v0, vcc, s0, v0
	v_addc_co_u32_e32 v1, vcc, 0, v1, vcc
	global_store_byte v[0:1], v10, off
	global_store_byte v[0:1], v8, off offset:256
	global_store_byte v[0:1], v7, off offset:512
	global_store_byte v[0:1], v6, off offset:768
	s_endpgm
	.section	.rodata,"a",@progbits
	.p2align	6, 0x0
	.amdhsa_kernel _Z6kernelI27subtract_right_partial_tileLj256ELj4ELb1EJPaPiS1_jEEvDpT3_
		.amdhsa_group_segment_fixed_size 512
		.amdhsa_private_segment_fixed_size 0
		.amdhsa_kernarg_size 28
		.amdhsa_user_sgpr_count 6
		.amdhsa_user_sgpr_private_segment_buffer 1
		.amdhsa_user_sgpr_dispatch_ptr 0
		.amdhsa_user_sgpr_queue_ptr 0
		.amdhsa_user_sgpr_kernarg_segment_ptr 1
		.amdhsa_user_sgpr_dispatch_id 0
		.amdhsa_user_sgpr_flat_scratch_init 0
		.amdhsa_user_sgpr_kernarg_preload_length 0
		.amdhsa_user_sgpr_kernarg_preload_offset 0
		.amdhsa_user_sgpr_private_segment_size 0
		.amdhsa_uses_dynamic_stack 0
		.amdhsa_system_sgpr_private_segment_wavefront_offset 0
		.amdhsa_system_sgpr_workgroup_id_x 1
		.amdhsa_system_sgpr_workgroup_id_y 0
		.amdhsa_system_sgpr_workgroup_id_z 0
		.amdhsa_system_sgpr_workgroup_info 0
		.amdhsa_system_vgpr_workitem_id 0
		.amdhsa_next_free_vgpr 13
		.amdhsa_next_free_sgpr 12
		.amdhsa_accum_offset 16
		.amdhsa_reserve_vcc 1
		.amdhsa_reserve_flat_scratch 0
		.amdhsa_float_round_mode_32 0
		.amdhsa_float_round_mode_16_64 0
		.amdhsa_float_denorm_mode_32 3
		.amdhsa_float_denorm_mode_16_64 3
		.amdhsa_dx10_clamp 1
		.amdhsa_ieee_mode 1
		.amdhsa_fp16_overflow 0
		.amdhsa_tg_split 0
		.amdhsa_exception_fp_ieee_invalid_op 0
		.amdhsa_exception_fp_denorm_src 0
		.amdhsa_exception_fp_ieee_div_zero 0
		.amdhsa_exception_fp_ieee_overflow 0
		.amdhsa_exception_fp_ieee_underflow 0
		.amdhsa_exception_fp_ieee_inexact 0
		.amdhsa_exception_int_div_zero 0
	.end_amdhsa_kernel
	.section	.text._Z6kernelI27subtract_right_partial_tileLj256ELj4ELb1EJPaPiS1_jEEvDpT3_,"axG",@progbits,_Z6kernelI27subtract_right_partial_tileLj256ELj4ELb1EJPaPiS1_jEEvDpT3_,comdat
.Lfunc_end224:
	.size	_Z6kernelI27subtract_right_partial_tileLj256ELj4ELb1EJPaPiS1_jEEvDpT3_, .Lfunc_end224-_Z6kernelI27subtract_right_partial_tileLj256ELj4ELb1EJPaPiS1_jEEvDpT3_
                                        ; -- End function
	.section	.AMDGPU.csdata,"",@progbits
; Kernel info:
; codeLenInByte = 632
; NumSgprs: 16
; NumVgprs: 13
; NumAgprs: 0
; TotalNumVgprs: 13
; ScratchSize: 0
; MemoryBound: 0
; FloatMode: 240
; IeeeMode: 1
; LDSByteSize: 512 bytes/workgroup (compile time only)
; SGPRBlocks: 1
; VGPRBlocks: 1
; NumSGPRsForWavesPerEU: 16
; NumVGPRsForWavesPerEU: 13
; AccumOffset: 16
; Occupancy: 8
; WaveLimiterHint : 1
; COMPUTE_PGM_RSRC2:SCRATCH_EN: 0
; COMPUTE_PGM_RSRC2:USER_SGPR: 6
; COMPUTE_PGM_RSRC2:TRAP_HANDLER: 0
; COMPUTE_PGM_RSRC2:TGID_X_EN: 1
; COMPUTE_PGM_RSRC2:TGID_Y_EN: 0
; COMPUTE_PGM_RSRC2:TGID_Z_EN: 0
; COMPUTE_PGM_RSRC2:TIDIG_COMP_CNT: 0
; COMPUTE_PGM_RSRC3_GFX90A:ACCUM_OFFSET: 3
; COMPUTE_PGM_RSRC3_GFX90A:TG_SPLIT: 0
	.section	.text._Z6kernelI27subtract_right_partial_tileLj256ELj8ELb1EJPaPiS1_jEEvDpT3_,"axG",@progbits,_Z6kernelI27subtract_right_partial_tileLj256ELj8ELb1EJPaPiS1_jEEvDpT3_,comdat
	.protected	_Z6kernelI27subtract_right_partial_tileLj256ELj8ELb1EJPaPiS1_jEEvDpT3_ ; -- Begin function _Z6kernelI27subtract_right_partial_tileLj256ELj8ELb1EJPaPiS1_jEEvDpT3_
	.globl	_Z6kernelI27subtract_right_partial_tileLj256ELj8ELb1EJPaPiS1_jEEvDpT3_
	.p2align	8
	.type	_Z6kernelI27subtract_right_partial_tileLj256ELj8ELb1EJPaPiS1_jEEvDpT3_,@function
_Z6kernelI27subtract_right_partial_tileLj256ELj8ELb1EJPaPiS1_jEEvDpT3_: ; @_Z6kernelI27subtract_right_partial_tileLj256ELj8ELb1EJPaPiS1_jEEvDpT3_
; %bb.0:
	s_load_dwordx4 s[0:3], s[4:5], 0x0
	s_load_dwordx2 s[8:9], s[4:5], 0x10
	s_lshl_b32 s10, s6, 11
	s_load_dword s4, s[4:5], 0x18
	s_mov_b32 s7, 0
	s_waitcnt lgkmcnt(0)
	s_add_u32 s0, s0, s10
	s_addc_u32 s1, s1, 0
	global_load_ubyte v9, v0, s[0:1] offset:256
	global_load_ubyte v10, v0, s[0:1] offset:768
	;; [unrolled: 1-line block ×4, first 2 shown]
	global_load_ubyte v13, v0, s[0:1]
	global_load_ubyte v14, v0, s[0:1] offset:512
	global_load_ubyte v15, v0, s[0:1] offset:1024
	;; [unrolled: 1-line block ×3, first 2 shown]
	v_cvt_f32_u32_e32 v17, s4
	s_lshl_b64 s[0:1], s[6:7], 2
	s_add_u32 s0, s2, s0
	s_addc_u32 s1, s3, s1
	v_rcp_iflag_f32_e32 v17, v17
	s_sub_i32 s3, 0, s4
	s_load_dword s2, s[0:1], 0x0
	v_lshlrev_b32_e32 v8, 3, v0
	v_mul_f32_e32 v17, 0x4f7ffffe, v17
	v_cvt_u32_f32_e32 v17, v17
	s_movk_i32 s11, 0xff00
	s_movk_i32 s12, 0xff
	s_mov_b32 s13, 0x3060504
	v_readfirstlane_b32 s0, v17
	s_mul_i32 s3, s3, s0
	s_mul_hi_u32 s1, s0, s3
	s_add_i32 s0, s0, s1
	s_lshr_b32 s0, s0, 21
	s_mul_i32 s1, s0, s4
	s_sub_i32 s1, 0x800, s1
	s_add_i32 s3, s0, 1
	s_sub_i32 s5, s1, s4
	s_cmp_ge_u32 s1, s4
	s_cselect_b32 s0, s3, s0
	s_cselect_b32 s1, s5, s1
	s_add_i32 s3, s0, 1
	s_cmp_ge_u32 s1, s4
	s_cselect_b32 s0, s3, s0
	s_mov_b32 s14, 0x3020104
	v_or_b32_e32 v1, 1, v8
	v_or_b32_e32 v2, 2, v8
	;; [unrolled: 1-line block ×7, first 2 shown]
	v_add_u32_e32 v8, 8, v8
	s_max_u32 s3, s4, 1
	s_add_i32 s4, s0, 1
                                        ; implicit-def: $vgpr17
	s_waitcnt vmcnt(7)
	v_lshlrev_b16_e32 v9, 8, v9
	s_waitcnt vmcnt(6)
	v_lshlrev_b16_e32 v10, 8, v10
	;; [unrolled: 2-line block ×4, first 2 shown]
	s_waitcnt vmcnt(3)
	v_or_b32_e32 v9, v13, v9
	s_waitcnt vmcnt(2)
	v_or_b32_sdwa v10, v14, v10 dst_sel:WORD_1 dst_unused:UNUSED_PAD src0_sel:DWORD src1_sel:DWORD
	s_waitcnt vmcnt(1)
	v_or_b32_e32 v11, v15, v11
	s_waitcnt vmcnt(0)
	v_or_b32_sdwa v12, v16, v12 dst_sel:WORD_1 dst_unused:UNUSED_PAD src0_sel:DWORD src1_sel:DWORD
	v_or_b32_sdwa v10, v9, v10 dst_sel:DWORD dst_unused:UNUSED_PAD src0_sel:WORD_0 src1_sel:DWORD
	v_or_b32_sdwa v11, v11, v12 dst_sel:DWORD dst_unused:UNUSED_PAD src0_sel:WORD_0 src1_sel:DWORD
	v_mov_b32_e32 v9, 8
                                        ; implicit-def: $vgpr16
                                        ; implicit-def: $vgpr15
	s_branch .LBB225_2
.LBB225_1:                              ;   in Loop: Header=BB225_2 Depth=1
	s_or_b64 exec, exec, s[0:1]
	v_add_u16_e32 v18, v16, v10
	v_lshrrev_b32_e32 v19, 8, v16
	v_add_u16_sdwa v12, v16, v12 dst_sel:DWORD dst_unused:UNUSED_PAD src0_sel:WORD_1 src1_sel:DWORD
	v_lshrrev_b32_e32 v16, 24, v16
	v_lshrrev_b32_e32 v15, 16, v17
	v_add_u16_e32 v14, v19, v14
	v_add_u16_sdwa v19, v16, v10 dst_sel:DWORD dst_unused:UNUSED_PAD src0_sel:DWORD src1_sel:BYTE_3
	v_add_u16_e32 v20, v17, v11
	v_lshrrev_b32_e32 v16, 8, v17
	v_lshrrev_b32_e32 v17, 24, v17
	v_add_u16_sdwa v21, v15, v11 dst_sel:DWORD dst_unused:UNUSED_PAD src0_sel:DWORD src1_sel:WORD_1
	v_add_u16_sdwa v22, v17, v11 dst_sel:DWORD dst_unused:UNUSED_PAD src0_sel:DWORD src1_sel:BYTE_3
	v_lshlrev_b16_e32 v10, 8, v14
	v_lshlrev_b16_e32 v11, 8, v19
	v_add_u16_e32 v13, v16, v13
	v_or_b32_sdwa v10, v18, v10 dst_sel:DWORD dst_unused:UNUSED_PAD src0_sel:BYTE_0 src1_sel:DWORD
	v_or_b32_sdwa v11, v12, v11 dst_sel:WORD_1 dst_unused:UNUSED_PAD src0_sel:BYTE_0 src1_sel:DWORD
	s_add_i32 s0, s4, s2
	v_or_b32_sdwa v10, v10, v11 dst_sel:DWORD dst_unused:UNUSED_PAD src0_sel:WORD_0 src1_sel:DWORD
	v_lshlrev_b16_e32 v11, 8, v13
	v_lshlrev_b16_e32 v23, 8, v22
	s_and_b32 s2, s0, 0x7ff
	v_or_b32_sdwa v11, v20, v11 dst_sel:DWORD dst_unused:UNUSED_PAD src0_sel:BYTE_0 src1_sel:DWORD
	v_or_b32_sdwa v23, v21, v23 dst_sel:WORD_1 dst_unused:UNUSED_PAD src0_sel:BYTE_0 src1_sel:DWORD
	s_add_i32 s3, s3, -1
	s_cmp_lg_u32 s3, 0
	v_or_b32_sdwa v11, v11, v23 dst_sel:DWORD dst_unused:UNUSED_PAD src0_sel:WORD_0 src1_sel:DWORD
	s_barrier
	s_cbranch_scc0 .LBB225_4
.LBB225_2:                              ; =>This Inner Loop Header: Depth=1
	v_lshrrev_b32_e32 v12, 16, v10
	v_sub_u16_sdwa v14, v12, v10 dst_sel:DWORD dst_unused:UNUSED_PAD src0_sel:DWORD src1_sel:BYTE_3
	s_waitcnt lgkmcnt(0)
	v_cmp_gt_u32_e32 vcc, s2, v3
	v_cndmask_b32_e32 v18, v12, v14, vcc
	v_lshrrev_b32_e32 v14, 8, v10
	v_and_b32_e32 v13, 0xffffff00, v12
	v_sub_u16_e32 v20, v10, v14
	v_cmp_gt_u32_e32 vcc, s2, v1
	v_or_b32_sdwa v19, v18, v13 dst_sel:DWORD dst_unused:UNUSED_PAD src0_sel:BYTE_0 src1_sel:DWORD
	v_and_b32_e32 v13, 0xffffff00, v10
	v_cndmask_b32_e32 v20, v10, v20, vcc
	v_or_b32_sdwa v21, v20, v13 dst_sel:DWORD dst_unused:UNUSED_PAD src0_sel:BYTE_0 src1_sel:DWORD
	v_lshlrev_b16_e32 v17, 8, v17
	v_or_b32_sdwa v15, v15, v17 dst_sel:WORD_1 dst_unused:UNUSED_PAD src0_sel:BYTE_0 src1_sel:DWORD
	v_lshlrev_b16_e32 v17, 8, v16
	v_and_b32_e32 v16, 0xffff, v21
	v_sub_u16_sdwa v21, v14, v12 dst_sel:BYTE_1 dst_unused:UNUSED_PAD src0_sel:DWORD src1_sel:DWORD
	v_or_b32_sdwa v20, v20, v21 dst_sel:DWORD dst_unused:UNUSED_PAD src0_sel:BYTE_0 src1_sel:DWORD
	v_and_b32_e32 v20, 0xffff, v20
	v_cmp_gt_u32_e32 vcc, s2, v2
	v_cndmask_b32_e32 v16, v16, v20, vcc
	v_sub_u16_sdwa v20, v10, v11 dst_sel:BYTE_1 dst_unused:UNUSED_PAD src0_sel:BYTE_3 src1_sel:DWORD
	v_or_b32_sdwa v18, v18, v20 dst_sel:DWORD dst_unused:UNUSED_PAD src0_sel:BYTE_0 src1_sel:DWORD
	v_cmp_gt_u32_e32 vcc, s2, v4
	v_lshrrev_b32_e32 v13, 8, v11
	v_cndmask_b32_e32 v18, v19, v18, vcc
	v_lshl_or_b32 v16, v18, 16, v16
	v_sub_u16_e32 v18, v11, v13
	v_or_b32_sdwa v18, v18, v17 dst_sel:DWORD dst_unused:UNUSED_PAD src0_sel:BYTE_0 src1_sel:DWORD
	v_or_b32_sdwa v17, v11, v17 dst_sel:DWORD dst_unused:UNUSED_PAD src0_sel:BYTE_0 src1_sel:DWORD
	v_or_b32_sdwa v18, v18, v15 dst_sel:DWORD dst_unused:UNUSED_PAD src0_sel:WORD_0 src1_sel:DWORD
	v_or_b32_sdwa v15, v17, v15 dst_sel:DWORD dst_unused:UNUSED_PAD src0_sel:WORD_0 src1_sel:DWORD
	v_cmp_gt_u32_e32 vcc, s2, v5
	v_and_b32_e32 v22, 0xffffff00, v11
	v_cndmask_b32_e32 v15, v15, v18, vcc
	v_sub_u16_sdwa v20, v13, v11 dst_sel:BYTE_1 dst_unused:UNUSED_PAD src0_sel:DWORD src1_sel:WORD_1
	v_or_b32_sdwa v17, v15, v22 dst_sel:DWORD dst_unused:UNUSED_PAD src0_sel:BYTE_0 src1_sel:DWORD
	v_and_b32_e32 v19, 0xffff0000, v15
	v_or_b32_sdwa v15, v15, v20 dst_sel:DWORD dst_unused:UNUSED_PAD src0_sel:BYTE_0 src1_sel:DWORD
	v_or_b32_sdwa v15, v15, v19 dst_sel:DWORD dst_unused:UNUSED_PAD src0_sel:WORD_0 src1_sel:DWORD
	v_or_b32_sdwa v17, v17, v19 dst_sel:DWORD dst_unused:UNUSED_PAD src0_sel:WORD_0 src1_sel:DWORD
	v_cmp_gt_u32_e32 vcc, s2, v6
	v_cndmask_b32_e32 v15, v17, v15, vcc
	v_and_b32_sdwa v18, v11, s12 dst_sel:DWORD dst_unused:UNUSED_PAD src0_sel:WORD_1 src1_sel:DWORD
	v_and_b32_sdwa v17, v15, s11 dst_sel:DWORD dst_unused:UNUSED_PAD src0_sel:WORD_1 src1_sel:DWORD
	v_sub_u16_sdwa v19, v11, v11 dst_sel:DWORD dst_unused:UNUSED_PAD src0_sel:WORD_1 src1_sel:BYTE_3
	v_or_b32_sdwa v19, v19, v17 dst_sel:WORD_1 dst_unused:UNUSED_PAD src0_sel:BYTE_0 src1_sel:DWORD
	v_or_b32_sdwa v17, v18, v17 dst_sel:WORD_1 dst_unused:UNUSED_PAD src0_sel:DWORD src1_sel:DWORD
	v_or_b32_sdwa v17, v15, v17 dst_sel:DWORD dst_unused:UNUSED_PAD src0_sel:WORD_0 src1_sel:DWORD
	v_or_b32_sdwa v15, v15, v19 dst_sel:DWORD dst_unused:UNUSED_PAD src0_sel:WORD_0 src1_sel:DWORD
	v_cmp_gt_u32_e32 vcc, s2, v7
	v_cndmask_b32_e32 v15, v17, v15, vcc
	v_perm_b32 v17, v15, v11, s13
	v_cmp_gt_u32_e32 vcc, s2, v8
	ds_write_b8 v0, v10 offset:256
	s_waitcnt lgkmcnt(0)
	s_barrier
	s_and_saveexec_b64 s[0:1], vcc
	s_cbranch_execz .LBB225_1
; %bb.3:                                ;   in Loop: Header=BB225_2 Depth=1
	ds_read_u8 v15, v0 offset:257
	v_lshrrev_b32_sdwa v18, v9, v17 dst_sel:BYTE_1 dst_unused:UNUSED_PAD src0_sel:DWORD src1_sel:DWORD
	v_or_b32_sdwa v18, v17, v18 dst_sel:DWORD dst_unused:UNUSED_PAD src0_sel:BYTE_0 src1_sel:DWORD
	v_and_b32_sdwa v17, v17, s12 dst_sel:DWORD dst_unused:UNUSED_PAD src0_sel:WORD_1 src1_sel:DWORD
	v_perm_b32 v16, v16, v16, s14
	s_waitcnt lgkmcnt(0)
	v_sub_u16_sdwa v15, v11, v15 dst_sel:DWORD dst_unused:UNUSED_PAD src0_sel:BYTE_3 src1_sel:DWORD
	v_lshlrev_b16_e32 v15, 8, v15
	v_or_b32_sdwa v15, v17, v15 dst_sel:WORD_1 dst_unused:UNUSED_PAD src0_sel:DWORD src1_sel:DWORD
	v_or_b32_sdwa v17, v18, v15 dst_sel:DWORD dst_unused:UNUSED_PAD src0_sel:WORD_0 src1_sel:DWORD
	s_branch .LBB225_1
.LBB225_4:
	s_add_u32 s0, s8, s10
	s_addc_u32 s1, s9, 0
	v_mov_b32_e32 v1, s1
	v_add_co_u32_e32 v0, vcc, s0, v0
	v_addc_co_u32_e32 v1, vcc, 0, v1, vcc
	global_store_byte v[0:1], v18, off
	global_store_byte v[0:1], v14, off offset:256
	global_store_byte v[0:1], v12, off offset:512
	;; [unrolled: 1-line block ×7, first 2 shown]
	s_endpgm
	.section	.rodata,"a",@progbits
	.p2align	6, 0x0
	.amdhsa_kernel _Z6kernelI27subtract_right_partial_tileLj256ELj8ELb1EJPaPiS1_jEEvDpT3_
		.amdhsa_group_segment_fixed_size 512
		.amdhsa_private_segment_fixed_size 0
		.amdhsa_kernarg_size 28
		.amdhsa_user_sgpr_count 6
		.amdhsa_user_sgpr_private_segment_buffer 1
		.amdhsa_user_sgpr_dispatch_ptr 0
		.amdhsa_user_sgpr_queue_ptr 0
		.amdhsa_user_sgpr_kernarg_segment_ptr 1
		.amdhsa_user_sgpr_dispatch_id 0
		.amdhsa_user_sgpr_flat_scratch_init 0
		.amdhsa_user_sgpr_kernarg_preload_length 0
		.amdhsa_user_sgpr_kernarg_preload_offset 0
		.amdhsa_user_sgpr_private_segment_size 0
		.amdhsa_uses_dynamic_stack 0
		.amdhsa_system_sgpr_private_segment_wavefront_offset 0
		.amdhsa_system_sgpr_workgroup_id_x 1
		.amdhsa_system_sgpr_workgroup_id_y 0
		.amdhsa_system_sgpr_workgroup_id_z 0
		.amdhsa_system_sgpr_workgroup_info 0
		.amdhsa_system_vgpr_workitem_id 0
		.amdhsa_next_free_vgpr 24
		.amdhsa_next_free_sgpr 15
		.amdhsa_accum_offset 24
		.amdhsa_reserve_vcc 1
		.amdhsa_reserve_flat_scratch 0
		.amdhsa_float_round_mode_32 0
		.amdhsa_float_round_mode_16_64 0
		.amdhsa_float_denorm_mode_32 3
		.amdhsa_float_denorm_mode_16_64 3
		.amdhsa_dx10_clamp 1
		.amdhsa_ieee_mode 1
		.amdhsa_fp16_overflow 0
		.amdhsa_tg_split 0
		.amdhsa_exception_fp_ieee_invalid_op 0
		.amdhsa_exception_fp_denorm_src 0
		.amdhsa_exception_fp_ieee_div_zero 0
		.amdhsa_exception_fp_ieee_overflow 0
		.amdhsa_exception_fp_ieee_underflow 0
		.amdhsa_exception_fp_ieee_inexact 0
		.amdhsa_exception_int_div_zero 0
	.end_amdhsa_kernel
	.section	.text._Z6kernelI27subtract_right_partial_tileLj256ELj8ELb1EJPaPiS1_jEEvDpT3_,"axG",@progbits,_Z6kernelI27subtract_right_partial_tileLj256ELj8ELb1EJPaPiS1_jEEvDpT3_,comdat
.Lfunc_end225:
	.size	_Z6kernelI27subtract_right_partial_tileLj256ELj8ELb1EJPaPiS1_jEEvDpT3_, .Lfunc_end225-_Z6kernelI27subtract_right_partial_tileLj256ELj8ELb1EJPaPiS1_jEEvDpT3_
                                        ; -- End function
	.section	.AMDGPU.csdata,"",@progbits
; Kernel info:
; codeLenInByte = 1080
; NumSgprs: 19
; NumVgprs: 24
; NumAgprs: 0
; TotalNumVgprs: 24
; ScratchSize: 0
; MemoryBound: 0
; FloatMode: 240
; IeeeMode: 1
; LDSByteSize: 512 bytes/workgroup (compile time only)
; SGPRBlocks: 2
; VGPRBlocks: 2
; NumSGPRsForWavesPerEU: 19
; NumVGPRsForWavesPerEU: 24
; AccumOffset: 24
; Occupancy: 8
; WaveLimiterHint : 1
; COMPUTE_PGM_RSRC2:SCRATCH_EN: 0
; COMPUTE_PGM_RSRC2:USER_SGPR: 6
; COMPUTE_PGM_RSRC2:TRAP_HANDLER: 0
; COMPUTE_PGM_RSRC2:TGID_X_EN: 1
; COMPUTE_PGM_RSRC2:TGID_Y_EN: 0
; COMPUTE_PGM_RSRC2:TGID_Z_EN: 0
; COMPUTE_PGM_RSRC2:TIDIG_COMP_CNT: 0
; COMPUTE_PGM_RSRC3_GFX90A:ACCUM_OFFSET: 5
; COMPUTE_PGM_RSRC3_GFX90A:TG_SPLIT: 0
	.section	.text._Z6kernelI27subtract_right_partial_tileLj256ELj16ELb1EJPaPiS1_jEEvDpT3_,"axG",@progbits,_Z6kernelI27subtract_right_partial_tileLj256ELj16ELb1EJPaPiS1_jEEvDpT3_,comdat
	.protected	_Z6kernelI27subtract_right_partial_tileLj256ELj16ELb1EJPaPiS1_jEEvDpT3_ ; -- Begin function _Z6kernelI27subtract_right_partial_tileLj256ELj16ELb1EJPaPiS1_jEEvDpT3_
	.globl	_Z6kernelI27subtract_right_partial_tileLj256ELj16ELb1EJPaPiS1_jEEvDpT3_
	.p2align	8
	.type	_Z6kernelI27subtract_right_partial_tileLj256ELj16ELb1EJPaPiS1_jEEvDpT3_,@function
_Z6kernelI27subtract_right_partial_tileLj256ELj16ELb1EJPaPiS1_jEEvDpT3_: ; @_Z6kernelI27subtract_right_partial_tileLj256ELj16ELb1EJPaPiS1_jEEvDpT3_
; %bb.0:
	s_load_dwordx4 s[0:3], s[4:5], 0x0
	s_load_dwordx2 s[8:9], s[4:5], 0x10
	s_lshl_b32 s10, s6, 12
	s_load_dword s4, s[4:5], 0x18
	s_mov_b32 s7, 0
	s_waitcnt lgkmcnt(0)
	s_add_u32 s0, s0, s10
	s_addc_u32 s1, s1, 0
	global_load_ubyte v17, v0, s[0:1] offset:256
	global_load_ubyte v18, v0, s[0:1] offset:768
	;; [unrolled: 1-line block ×8, first 2 shown]
	global_load_ubyte v25, v0, s[0:1]
	global_load_ubyte v26, v0, s[0:1] offset:512
	global_load_ubyte v27, v0, s[0:1] offset:1024
	;; [unrolled: 1-line block ×7, first 2 shown]
	v_cvt_f32_u32_e32 v33, s4
	s_lshl_b64 s[0:1], s[6:7], 2
	s_add_u32 s0, s2, s0
	s_addc_u32 s1, s3, s1
	v_rcp_iflag_f32_e32 v33, v33
	s_sub_i32 s3, 0, s4
	s_load_dword s2, s[0:1], 0x0
	v_lshlrev_b32_e32 v16, 4, v0
	v_mul_f32_e32 v33, 0x4f7ffffe, v33
	v_cvt_u32_f32_e32 v33, v33
	s_movk_i32 s11, 0xff00
	s_movk_i32 s12, 0xff
	v_or_b32_e32 v1, 1, v16
	v_readfirstlane_b32 s0, v33
	s_mul_i32 s3, s3, s0
	s_mul_hi_u32 s1, s0, s3
	s_add_i32 s0, s0, s1
	s_lshr_b32 s0, s0, 20
	s_mul_i32 s1, s0, s4
	s_sub_i32 s1, 0x1000, s1
	s_add_i32 s3, s0, 1
	s_sub_i32 s5, s1, s4
	s_cmp_ge_u32 s1, s4
	s_cselect_b32 s0, s3, s0
	s_cselect_b32 s1, s5, s1
	s_add_i32 s3, s0, 1
	s_cmp_ge_u32 s1, s4
	s_cselect_b32 s0, s3, s0
	v_or_b32_e32 v2, 2, v16
	v_or_b32_e32 v3, 3, v16
	;; [unrolled: 1-line block ×14, first 2 shown]
	v_add_u32_e32 v16, 16, v16
	s_max_u32 s3, s4, 1
	s_add_i32 s4, s0, 1
	s_mov_b32 s5, 0x3060504
	s_mov_b32 s6, 0x3020104
                                        ; implicit-def: $vgpr33
	s_waitcnt vmcnt(15)
	v_lshlrev_b16_e32 v17, 8, v17
	s_waitcnt vmcnt(14)
	v_lshlrev_b16_e32 v18, 8, v18
	;; [unrolled: 2-line block ×8, first 2 shown]
	s_waitcnt vmcnt(7)
	v_or_b32_e32 v17, v25, v17
	s_waitcnt vmcnt(6)
	v_or_b32_sdwa v18, v26, v18 dst_sel:WORD_1 dst_unused:UNUSED_PAD src0_sel:DWORD src1_sel:DWORD
	s_waitcnt vmcnt(5)
	v_or_b32_e32 v19, v27, v19
	s_waitcnt vmcnt(4)
	v_or_b32_sdwa v20, v28, v20 dst_sel:WORD_1 dst_unused:UNUSED_PAD src0_sel:DWORD src1_sel:DWORD
	;; [unrolled: 4-line block ×4, first 2 shown]
	v_or_b32_sdwa v21, v17, v18 dst_sel:DWORD dst_unused:UNUSED_PAD src0_sel:WORD_0 src1_sel:DWORD
	v_or_b32_sdwa v18, v19, v20 dst_sel:DWORD dst_unused:UNUSED_PAD src0_sel:WORD_0 src1_sel:DWORD
	;; [unrolled: 1-line block ×4, first 2 shown]
	v_mov_b32_e32 v17, 8
                                        ; implicit-def: $vgpr32
                                        ; implicit-def: $vgpr29
                                        ; implicit-def: $vgpr26
                                        ; implicit-def: $vgpr25
                                        ; implicit-def: $vgpr27
	s_branch .LBB226_2
.LBB226_1:                              ;   in Loop: Header=BB226_2 Depth=1
	s_or_b64 exec, exec, s[0:1]
	v_lshrrev_b32_e32 v33, 8, v32
	v_lshrrev_b32_e32 v29, 16, v26
	v_add_u16_e32 v24, v33, v24
	v_lshrrev_b32_e32 v33, 24, v26
	v_add_u16_e32 v34, v32, v21
	v_add_u16_sdwa v22, v32, v22 dst_sel:DWORD dst_unused:UNUSED_PAD src0_sel:WORD_1 src1_sel:DWORD
	v_lshrrev_b32_e32 v32, 24, v32
	v_add_u16_e32 v36, v26, v18
	v_add_u16_sdwa v37, v29, v18 dst_sel:DWORD dst_unused:UNUSED_PAD src0_sel:DWORD src1_sel:WORD_1
	v_add_u16_sdwa v38, v33, v18 dst_sel:DWORD dst_unused:UNUSED_PAD src0_sel:DWORD src1_sel:BYTE_3
	v_lshrrev_b32_e32 v18, 8, v40
	v_add_u16_sdwa v35, v32, v21 dst_sel:DWORD dst_unused:UNUSED_PAD src0_sel:DWORD src1_sel:BYTE_3
	v_add_u16_e32 v31, v18, v31
	v_lshrrev_b32_e32 v18, 24, v40
	v_lshrrev_b32_e32 v32, 8, v26
	v_add_u16_e32 v39, v40, v19
	v_add_u16_sdwa v28, v40, v28 dst_sel:DWORD dst_unused:UNUSED_PAD src0_sel:WORD_1 src1_sel:DWORD
	v_add_u16_sdwa v40, v18, v19 dst_sel:DWORD dst_unused:UNUSED_PAD src0_sel:DWORD src1_sel:BYTE_3
	v_lshlrev_b16_e32 v18, 8, v24
	v_lshlrev_b16_e32 v19, 8, v35
	v_add_u16_e32 v23, v32, v23
	v_or_b32_sdwa v18, v34, v18 dst_sel:DWORD dst_unused:UNUSED_PAD src0_sel:BYTE_0 src1_sel:DWORD
	v_or_b32_sdwa v19, v22, v19 dst_sel:WORD_1 dst_unused:UNUSED_PAD src0_sel:BYTE_0 src1_sel:DWORD
	v_or_b32_sdwa v21, v18, v19 dst_sel:DWORD dst_unused:UNUSED_PAD src0_sel:WORD_0 src1_sel:DWORD
	v_lshlrev_b16_e32 v18, 8, v23
	v_lshlrev_b16_e32 v19, 8, v38
	v_lshrrev_b32_e32 v25, 16, v27
	v_add_u16_e32 v41, v27, v20
	v_lshrrev_b32_e32 v26, 8, v27
	v_lshrrev_b32_e32 v27, 24, v27
	v_or_b32_sdwa v18, v36, v18 dst_sel:DWORD dst_unused:UNUSED_PAD src0_sel:BYTE_0 src1_sel:DWORD
	v_or_b32_sdwa v19, v37, v19 dst_sel:WORD_1 dst_unused:UNUSED_PAD src0_sel:BYTE_0 src1_sel:DWORD
	v_add_u16_sdwa v42, v25, v20 dst_sel:DWORD dst_unused:UNUSED_PAD src0_sel:DWORD src1_sel:WORD_1
	v_add_u16_sdwa v43, v27, v20 dst_sel:DWORD dst_unused:UNUSED_PAD src0_sel:DWORD src1_sel:BYTE_3
	v_or_b32_sdwa v18, v18, v19 dst_sel:DWORD dst_unused:UNUSED_PAD src0_sel:WORD_0 src1_sel:DWORD
	v_lshlrev_b16_e32 v19, 8, v31
	v_lshlrev_b16_e32 v20, 8, v40
	v_add_u16_e32 v30, v26, v30
	v_or_b32_sdwa v19, v39, v19 dst_sel:DWORD dst_unused:UNUSED_PAD src0_sel:BYTE_0 src1_sel:DWORD
	v_or_b32_sdwa v20, v28, v20 dst_sel:WORD_1 dst_unused:UNUSED_PAD src0_sel:BYTE_0 src1_sel:DWORD
	s_add_i32 s0, s4, s2
	v_or_b32_sdwa v19, v19, v20 dst_sel:DWORD dst_unused:UNUSED_PAD src0_sel:WORD_0 src1_sel:DWORD
	v_lshlrev_b16_e32 v20, 8, v30
	v_lshlrev_b16_e32 v44, 8, v43
	s_and_b32 s2, s0, 0xfff
	v_or_b32_sdwa v20, v41, v20 dst_sel:DWORD dst_unused:UNUSED_PAD src0_sel:BYTE_0 src1_sel:DWORD
	v_or_b32_sdwa v44, v42, v44 dst_sel:WORD_1 dst_unused:UNUSED_PAD src0_sel:BYTE_0 src1_sel:DWORD
	s_add_i32 s3, s3, -1
	s_cmp_lg_u32 s3, 0
	v_or_b32_sdwa v20, v20, v44 dst_sel:DWORD dst_unused:UNUSED_PAD src0_sel:WORD_0 src1_sel:DWORD
	s_barrier
	s_cbranch_scc0 .LBB226_4
.LBB226_2:                              ; =>This Inner Loop Header: Depth=1
	v_lshrrev_b32_e32 v22, 16, v21
	v_sub_u16_sdwa v24, v22, v21 dst_sel:DWORD dst_unused:UNUSED_PAD src0_sel:DWORD src1_sel:BYTE_3
	s_waitcnt lgkmcnt(0)
	v_cmp_gt_u32_e32 vcc, s2, v3
	v_cndmask_b32_e32 v28, v22, v24, vcc
	v_lshrrev_b32_e32 v24, 8, v21
	v_and_b32_e32 v23, 0xffffff00, v22
	v_sub_u16_e32 v31, v21, v24
	v_cmp_gt_u32_e32 vcc, s2, v1
	v_or_b32_sdwa v30, v28, v23 dst_sel:DWORD dst_unused:UNUSED_PAD src0_sel:BYTE_0 src1_sel:DWORD
	v_and_b32_e32 v23, 0xffffff00, v21
	v_cndmask_b32_e32 v31, v21, v31, vcc
	v_or_b32_sdwa v34, v31, v23 dst_sel:DWORD dst_unused:UNUSED_PAD src0_sel:BYTE_0 src1_sel:DWORD
	v_lshlrev_b16_e32 v33, 8, v33
	v_or_b32_sdwa v33, v29, v33 dst_sel:WORD_1 dst_unused:UNUSED_PAD src0_sel:BYTE_0 src1_sel:DWORD
	v_and_b32_e32 v29, 0xffff, v34
	v_sub_u16_sdwa v34, v24, v22 dst_sel:BYTE_1 dst_unused:UNUSED_PAD src0_sel:DWORD src1_sel:DWORD
	v_or_b32_sdwa v31, v31, v34 dst_sel:DWORD dst_unused:UNUSED_PAD src0_sel:BYTE_0 src1_sel:DWORD
	v_and_b32_e32 v31, 0xffff, v31
	v_cmp_gt_u32_e32 vcc, s2, v2
	v_cndmask_b32_e32 v29, v29, v31, vcc
	v_sub_u16_sdwa v31, v21, v18 dst_sel:BYTE_1 dst_unused:UNUSED_PAD src0_sel:BYTE_3 src1_sel:DWORD
	v_or_b32_sdwa v28, v28, v31 dst_sel:DWORD dst_unused:UNUSED_PAD src0_sel:BYTE_0 src1_sel:DWORD
	v_cmp_gt_u32_e32 vcc, s2, v4
	v_lshrrev_b32_e32 v23, 8, v18
	v_cndmask_b32_e32 v28, v30, v28, vcc
	v_lshlrev_b16_e32 v32, 8, v32
	v_lshl_or_b32 v29, v28, 16, v29
	v_sub_u16_e32 v28, v18, v23
	v_or_b32_sdwa v28, v28, v32 dst_sel:DWORD dst_unused:UNUSED_PAD src0_sel:BYTE_0 src1_sel:DWORD
	v_or_b32_sdwa v30, v18, v32 dst_sel:DWORD dst_unused:UNUSED_PAD src0_sel:BYTE_0 src1_sel:DWORD
	v_or_b32_sdwa v28, v28, v33 dst_sel:DWORD dst_unused:UNUSED_PAD src0_sel:WORD_0 src1_sel:DWORD
	v_or_b32_sdwa v30, v30, v33 dst_sel:DWORD dst_unused:UNUSED_PAD src0_sel:WORD_0 src1_sel:DWORD
	v_cmp_gt_u32_e32 vcc, s2, v5
	v_and_b32_e32 v35, 0xffffff00, v18
	v_cndmask_b32_e32 v28, v30, v28, vcc
	v_sub_u16_sdwa v34, v23, v18 dst_sel:BYTE_1 dst_unused:UNUSED_PAD src0_sel:DWORD src1_sel:WORD_1
	v_or_b32_sdwa v30, v28, v35 dst_sel:DWORD dst_unused:UNUSED_PAD src0_sel:BYTE_0 src1_sel:DWORD
	v_and_b32_e32 v33, 0xffff0000, v28
	v_or_b32_sdwa v28, v28, v34 dst_sel:DWORD dst_unused:UNUSED_PAD src0_sel:BYTE_0 src1_sel:DWORD
	v_or_b32_sdwa v28, v28, v33 dst_sel:DWORD dst_unused:UNUSED_PAD src0_sel:WORD_0 src1_sel:DWORD
	v_or_b32_sdwa v30, v30, v33 dst_sel:DWORD dst_unused:UNUSED_PAD src0_sel:WORD_0 src1_sel:DWORD
	v_cmp_gt_u32_e32 vcc, s2, v6
	v_cndmask_b32_e32 v28, v30, v28, vcc
	v_and_b32_sdwa v32, v18, s12 dst_sel:DWORD dst_unused:UNUSED_PAD src0_sel:WORD_1 src1_sel:DWORD
	v_and_b32_sdwa v30, v28, s11 dst_sel:DWORD dst_unused:UNUSED_PAD src0_sel:WORD_1 src1_sel:DWORD
	v_sub_u16_sdwa v33, v18, v18 dst_sel:DWORD dst_unused:UNUSED_PAD src0_sel:WORD_1 src1_sel:BYTE_3
	v_or_b32_sdwa v33, v33, v30 dst_sel:WORD_1 dst_unused:UNUSED_PAD src0_sel:BYTE_0 src1_sel:DWORD
	v_or_b32_sdwa v30, v32, v30 dst_sel:WORD_1 dst_unused:UNUSED_PAD src0_sel:DWORD src1_sel:DWORD
	v_or_b32_sdwa v30, v28, v30 dst_sel:DWORD dst_unused:UNUSED_PAD src0_sel:WORD_0 src1_sel:DWORD
	v_or_b32_sdwa v28, v28, v33 dst_sel:DWORD dst_unused:UNUSED_PAD src0_sel:WORD_0 src1_sel:DWORD
	v_cmp_gt_u32_e32 vcc, s2, v7
	v_cndmask_b32_e32 v32, v30, v28, vcc
	v_and_b32_sdwa v31, v18, s11 dst_sel:DWORD dst_unused:UNUSED_PAD src0_sel:WORD_1 src1_sel:DWORD
	v_and_b32_sdwa v33, v32, s12 dst_sel:DWORD dst_unused:UNUSED_PAD src0_sel:WORD_1 src1_sel:DWORD
	v_lshrrev_b32_e32 v28, 16, v19
	v_or_b32_sdwa v34, v33, v31 dst_sel:WORD_1 dst_unused:UNUSED_PAD src0_sel:DWORD src1_sel:DWORD
	v_sub_u16_sdwa v31, v28, v19 dst_sel:DWORD dst_unused:UNUSED_PAD src0_sel:DWORD src1_sel:BYTE_3
	v_cmp_gt_u32_e32 vcc, s2, v11
	v_cndmask_b32_e32 v35, v28, v31, vcc
	v_lshrrev_b32_e32 v31, 8, v19
	v_and_b32_e32 v30, 0xffffff00, v28
	v_sub_u16_e32 v37, v19, v31
	v_cmp_gt_u32_e32 vcc, s2, v9
	v_or_b32_sdwa v36, v35, v30 dst_sel:DWORD dst_unused:UNUSED_PAD src0_sel:BYTE_0 src1_sel:DWORD
	v_and_b32_e32 v30, 0xffffff00, v19
	v_cndmask_b32_e32 v37, v19, v37, vcc
	v_or_b32_sdwa v38, v37, v30 dst_sel:DWORD dst_unused:UNUSED_PAD src0_sel:BYTE_0 src1_sel:DWORD
	v_lshlrev_b16_e32 v27, 8, v27
	v_or_b32_sdwa v27, v25, v27 dst_sel:WORD_1 dst_unused:UNUSED_PAD src0_sel:BYTE_0 src1_sel:DWORD
	v_and_b32_e32 v25, 0xffff, v38
	v_sub_u16_sdwa v38, v31, v28 dst_sel:BYTE_1 dst_unused:UNUSED_PAD src0_sel:DWORD src1_sel:DWORD
	v_or_b32_sdwa v37, v37, v38 dst_sel:DWORD dst_unused:UNUSED_PAD src0_sel:BYTE_0 src1_sel:DWORD
	v_and_b32_e32 v37, 0xffff, v37
	v_cmp_gt_u32_e32 vcc, s2, v10
	v_cndmask_b32_e32 v25, v25, v37, vcc
	v_sub_u16_sdwa v37, v19, v20 dst_sel:BYTE_1 dst_unused:UNUSED_PAD src0_sel:BYTE_3 src1_sel:DWORD
	v_or_b32_sdwa v35, v35, v37 dst_sel:DWORD dst_unused:UNUSED_PAD src0_sel:BYTE_0 src1_sel:DWORD
	v_cmp_gt_u32_e32 vcc, s2, v12
	v_lshrrev_b32_e32 v30, 8, v20
	v_cndmask_b32_e32 v35, v36, v35, vcc
	v_lshlrev_b16_e32 v26, 8, v26
	v_lshl_or_b32 v25, v35, 16, v25
	v_sub_u16_e32 v35, v20, v30
	v_or_b32_sdwa v35, v35, v26 dst_sel:DWORD dst_unused:UNUSED_PAD src0_sel:BYTE_0 src1_sel:DWORD
	v_or_b32_sdwa v26, v20, v26 dst_sel:DWORD dst_unused:UNUSED_PAD src0_sel:BYTE_0 src1_sel:DWORD
	v_or_b32_sdwa v35, v35, v27 dst_sel:DWORD dst_unused:UNUSED_PAD src0_sel:WORD_0 src1_sel:DWORD
	v_or_b32_sdwa v26, v26, v27 dst_sel:DWORD dst_unused:UNUSED_PAD src0_sel:WORD_0 src1_sel:DWORD
	v_cmp_gt_u32_e32 vcc, s2, v13
	v_cndmask_b32_e32 v27, v26, v35, vcc
	v_or_b32_sdwa v26, v32, v34 dst_sel:DWORD dst_unused:UNUSED_PAD src0_sel:WORD_0 src1_sel:DWORD
	v_sub_u16_sdwa v34, v18, v19 dst_sel:BYTE_1 dst_unused:UNUSED_PAD src0_sel:BYTE_3 src1_sel:DWORD
	v_or_b32_sdwa v33, v33, v34 dst_sel:WORD_1 dst_unused:UNUSED_PAD src0_sel:DWORD src1_sel:DWORD
	v_and_b32_e32 v39, 0xffffff00, v20
	v_or_b32_sdwa v32, v32, v33 dst_sel:DWORD dst_unused:UNUSED_PAD src0_sel:WORD_0 src1_sel:DWORD
	v_cmp_gt_u32_e32 vcc, s2, v8
	v_sub_u16_sdwa v33, v30, v20 dst_sel:BYTE_1 dst_unused:UNUSED_PAD src0_sel:DWORD src1_sel:WORD_1
	v_or_b32_sdwa v35, v27, v39 dst_sel:DWORD dst_unused:UNUSED_PAD src0_sel:BYTE_0 src1_sel:DWORD
	v_cndmask_b32_e32 v26, v26, v32, vcc
	v_and_b32_e32 v32, 0xffff0000, v27
	v_or_b32_sdwa v27, v27, v33 dst_sel:DWORD dst_unused:UNUSED_PAD src0_sel:BYTE_0 src1_sel:DWORD
	v_or_b32_sdwa v27, v27, v32 dst_sel:DWORD dst_unused:UNUSED_PAD src0_sel:WORD_0 src1_sel:DWORD
	v_or_b32_sdwa v32, v35, v32 dst_sel:DWORD dst_unused:UNUSED_PAD src0_sel:WORD_0 src1_sel:DWORD
	v_cmp_gt_u32_e32 vcc, s2, v14
	v_cndmask_b32_e32 v27, v32, v27, vcc
	v_and_b32_sdwa v36, v20, s12 dst_sel:DWORD dst_unused:UNUSED_PAD src0_sel:WORD_1 src1_sel:DWORD
	v_and_b32_sdwa v32, v27, s11 dst_sel:DWORD dst_unused:UNUSED_PAD src0_sel:WORD_1 src1_sel:DWORD
	v_sub_u16_sdwa v33, v20, v20 dst_sel:DWORD dst_unused:UNUSED_PAD src0_sel:WORD_1 src1_sel:BYTE_3
	v_or_b32_sdwa v33, v33, v32 dst_sel:WORD_1 dst_unused:UNUSED_PAD src0_sel:BYTE_0 src1_sel:DWORD
	v_or_b32_sdwa v32, v36, v32 dst_sel:WORD_1 dst_unused:UNUSED_PAD src0_sel:DWORD src1_sel:DWORD
	v_or_b32_sdwa v32, v27, v32 dst_sel:DWORD dst_unused:UNUSED_PAD src0_sel:WORD_0 src1_sel:DWORD
	v_or_b32_sdwa v27, v27, v33 dst_sel:DWORD dst_unused:UNUSED_PAD src0_sel:WORD_0 src1_sel:DWORD
	v_cmp_gt_u32_e32 vcc, s2, v15
	v_cndmask_b32_e32 v27, v32, v27, vcc
	v_perm_b32 v27, v27, v20, s5
	v_cmp_gt_u32_e32 vcc, s2, v16
	v_perm_b32 v32, v29, v29, s6
	v_perm_b32 v40, v25, v25, s6
	ds_write_b8 v0, v21 offset:256
	s_waitcnt lgkmcnt(0)
	s_barrier
	s_and_saveexec_b64 s[0:1], vcc
	s_cbranch_execz .LBB226_1
; %bb.3:                                ;   in Loop: Header=BB226_2 Depth=1
	ds_read_u8 v33, v0 offset:257
	v_mov_b32_e32 v32, v29
	v_lshrrev_b32_sdwa v34, v17, v27 dst_sel:BYTE_1 dst_unused:UNUSED_PAD src0_sel:DWORD src1_sel:DWORD
	v_and_b32_sdwa v35, v27, s12 dst_sel:DWORD dst_unused:UNUSED_PAD src0_sel:WORD_1 src1_sel:DWORD
	v_or_b32_sdwa v27, v27, v34 dst_sel:DWORD dst_unused:UNUSED_PAD src0_sel:BYTE_0 src1_sel:DWORD
	s_waitcnt lgkmcnt(0)
	v_sub_u16_sdwa v29, v20, v33 dst_sel:DWORD dst_unused:UNUSED_PAD src0_sel:BYTE_3 src1_sel:DWORD
	v_lshlrev_b16_e32 v29, 8, v29
	v_or_b32_sdwa v29, v35, v29 dst_sel:WORD_1 dst_unused:UNUSED_PAD src0_sel:DWORD src1_sel:DWORD
	v_or_b32_sdwa v27, v27, v29 dst_sel:DWORD dst_unused:UNUSED_PAD src0_sel:WORD_0 src1_sel:DWORD
	v_mov_b32_e32 v40, v25
	s_branch .LBB226_1
.LBB226_4:
	s_add_u32 s0, s8, s10
	s_addc_u32 s1, s9, 0
	v_mov_b32_e32 v1, s1
	v_add_co_u32_e32 v0, vcc, s0, v0
	v_addc_co_u32_e32 v1, vcc, 0, v1, vcc
	global_store_byte v[0:1], v34, off
	global_store_byte v[0:1], v24, off offset:256
	global_store_byte v[0:1], v22, off offset:512
	;; [unrolled: 1-line block ×15, first 2 shown]
	s_endpgm
	.section	.rodata,"a",@progbits
	.p2align	6, 0x0
	.amdhsa_kernel _Z6kernelI27subtract_right_partial_tileLj256ELj16ELb1EJPaPiS1_jEEvDpT3_
		.amdhsa_group_segment_fixed_size 512
		.amdhsa_private_segment_fixed_size 0
		.amdhsa_kernarg_size 28
		.amdhsa_user_sgpr_count 6
		.amdhsa_user_sgpr_private_segment_buffer 1
		.amdhsa_user_sgpr_dispatch_ptr 0
		.amdhsa_user_sgpr_queue_ptr 0
		.amdhsa_user_sgpr_kernarg_segment_ptr 1
		.amdhsa_user_sgpr_dispatch_id 0
		.amdhsa_user_sgpr_flat_scratch_init 0
		.amdhsa_user_sgpr_kernarg_preload_length 0
		.amdhsa_user_sgpr_kernarg_preload_offset 0
		.amdhsa_user_sgpr_private_segment_size 0
		.amdhsa_uses_dynamic_stack 0
		.amdhsa_system_sgpr_private_segment_wavefront_offset 0
		.amdhsa_system_sgpr_workgroup_id_x 1
		.amdhsa_system_sgpr_workgroup_id_y 0
		.amdhsa_system_sgpr_workgroup_id_z 0
		.amdhsa_system_sgpr_workgroup_info 0
		.amdhsa_system_vgpr_workitem_id 0
		.amdhsa_next_free_vgpr 45
		.amdhsa_next_free_sgpr 13
		.amdhsa_accum_offset 48
		.amdhsa_reserve_vcc 1
		.amdhsa_reserve_flat_scratch 0
		.amdhsa_float_round_mode_32 0
		.amdhsa_float_round_mode_16_64 0
		.amdhsa_float_denorm_mode_32 3
		.amdhsa_float_denorm_mode_16_64 3
		.amdhsa_dx10_clamp 1
		.amdhsa_ieee_mode 1
		.amdhsa_fp16_overflow 0
		.amdhsa_tg_split 0
		.amdhsa_exception_fp_ieee_invalid_op 0
		.amdhsa_exception_fp_denorm_src 0
		.amdhsa_exception_fp_ieee_div_zero 0
		.amdhsa_exception_fp_ieee_overflow 0
		.amdhsa_exception_fp_ieee_underflow 0
		.amdhsa_exception_fp_ieee_inexact 0
		.amdhsa_exception_int_div_zero 0
	.end_amdhsa_kernel
	.section	.text._Z6kernelI27subtract_right_partial_tileLj256ELj16ELb1EJPaPiS1_jEEvDpT3_,"axG",@progbits,_Z6kernelI27subtract_right_partial_tileLj256ELj16ELb1EJPaPiS1_jEEvDpT3_,comdat
.Lfunc_end226:
	.size	_Z6kernelI27subtract_right_partial_tileLj256ELj16ELb1EJPaPiS1_jEEvDpT3_, .Lfunc_end226-_Z6kernelI27subtract_right_partial_tileLj256ELj16ELb1EJPaPiS1_jEEvDpT3_
                                        ; -- End function
	.section	.AMDGPU.csdata,"",@progbits
; Kernel info:
; codeLenInByte = 1872
; NumSgprs: 17
; NumVgprs: 45
; NumAgprs: 0
; TotalNumVgprs: 45
; ScratchSize: 0
; MemoryBound: 0
; FloatMode: 240
; IeeeMode: 1
; LDSByteSize: 512 bytes/workgroup (compile time only)
; SGPRBlocks: 2
; VGPRBlocks: 5
; NumSGPRsForWavesPerEU: 17
; NumVGPRsForWavesPerEU: 45
; AccumOffset: 48
; Occupancy: 8
; WaveLimiterHint : 1
; COMPUTE_PGM_RSRC2:SCRATCH_EN: 0
; COMPUTE_PGM_RSRC2:USER_SGPR: 6
; COMPUTE_PGM_RSRC2:TRAP_HANDLER: 0
; COMPUTE_PGM_RSRC2:TGID_X_EN: 1
; COMPUTE_PGM_RSRC2:TGID_Y_EN: 0
; COMPUTE_PGM_RSRC2:TGID_Z_EN: 0
; COMPUTE_PGM_RSRC2:TIDIG_COMP_CNT: 0
; COMPUTE_PGM_RSRC3_GFX90A:ACCUM_OFFSET: 11
; COMPUTE_PGM_RSRC3_GFX90A:TG_SPLIT: 0
	.section	.text._Z6kernelI27subtract_right_partial_tileLj256ELj32ELb1EJPaPiS1_jEEvDpT3_,"axG",@progbits,_Z6kernelI27subtract_right_partial_tileLj256ELj32ELb1EJPaPiS1_jEEvDpT3_,comdat
	.protected	_Z6kernelI27subtract_right_partial_tileLj256ELj32ELb1EJPaPiS1_jEEvDpT3_ ; -- Begin function _Z6kernelI27subtract_right_partial_tileLj256ELj32ELb1EJPaPiS1_jEEvDpT3_
	.globl	_Z6kernelI27subtract_right_partial_tileLj256ELj32ELb1EJPaPiS1_jEEvDpT3_
	.p2align	8
	.type	_Z6kernelI27subtract_right_partial_tileLj256ELj32ELb1EJPaPiS1_jEEvDpT3_,@function
_Z6kernelI27subtract_right_partial_tileLj256ELj32ELb1EJPaPiS1_jEEvDpT3_: ; @_Z6kernelI27subtract_right_partial_tileLj256ELj32ELb1EJPaPiS1_jEEvDpT3_
; %bb.0:
	s_load_dwordx4 s[0:3], s[4:5], 0x0
	s_load_dwordx2 s[8:9], s[4:5], 0x10
	s_lshl_b32 s10, s6, 13
	s_movk_i32 s7, 0x1000
	s_load_dword s4, s[4:5], 0x18
	s_waitcnt lgkmcnt(0)
	s_add_u32 s0, s0, s10
	s_addc_u32 s1, s1, 0
	v_mov_b32_e32 v1, s1
	v_add_co_u32_e32 v2, vcc, s0, v0
	v_addc_co_u32_e32 v1, vcc, 0, v1, vcc
	v_add_co_u32_e32 v32, vcc, s7, v2
	v_addc_co_u32_e32 v33, vcc, 0, v1, vcc
	global_load_ubyte v8, v[32:33], off
	global_load_ubyte v7, v[32:33], off offset:256
	global_load_ubyte v6, v[32:33], off offset:512
	global_load_ubyte v5, v[32:33], off offset:768
	global_load_ubyte v4, v[32:33], off offset:1024
	global_load_ubyte v3, v[32:33], off offset:1280
	global_load_ubyte v2, v[32:33], off offset:1536
	global_load_ubyte v1, v[32:33], off offset:1792
	global_load_ubyte v16, v[32:33], off offset:2048
	global_load_ubyte v15, v[32:33], off offset:2304
	global_load_ubyte v14, v[32:33], off offset:2560
	global_load_ubyte v13, v[32:33], off offset:2816
	global_load_ubyte v12, v[32:33], off offset:3072
	global_load_ubyte v11, v[32:33], off offset:3328
	global_load_ubyte v10, v[32:33], off offset:3584
	global_load_ubyte v9, v[32:33], off offset:3840
	global_load_ubyte v19, v0, s[0:1]
	global_load_ubyte v18, v0, s[0:1] offset:256
	global_load_ubyte v17, v0, s[0:1] offset:512
	;; [unrolled: 1-line block ×13, first 2 shown]
                                        ; kill: killed $vgpr32 killed $vgpr33
	global_load_ubyte v32, v0, s[0:1] offset:3584
	global_load_ubyte v31, v0, s[0:1] offset:3840
	v_cvt_f32_u32_e32 v33, s4
	s_mov_b32 s7, 0
	s_lshl_b64 s[0:1], s[6:7], 2
	s_add_u32 s0, s2, s0
	v_rcp_iflag_f32_e32 v33, v33
	s_addc_u32 s1, s3, s1
	s_load_dword s2, s[0:1], 0x0
	s_sub_i32 s0, 0, s4
	v_mul_f32_e32 v33, 0x4f7ffffe, v33
	v_cvt_u32_f32_e32 v33, v33
	v_lshlrev_b32_e32 v64, 5, v0
	v_or_b32_e32 v34, 2, v64
	v_or_b32_e32 v35, 3, v64
	v_readfirstlane_b32 s1, v33
	s_mul_i32 s0, s0, s1
	s_mul_hi_u32 s0, s1, s0
	s_add_i32 s1, s1, s0
	s_lshr_b32 s0, s1, 19
	s_mul_i32 s1, s0, s4
	s_sub_i32 s1, 0x2000, s1
	s_add_i32 s3, s0, 1
	s_sub_i32 s5, s1, s4
	s_cmp_ge_u32 s1, s4
	s_cselect_b32 s0, s3, s0
	s_cselect_b32 s1, s5, s1
	s_add_i32 s3, s0, 1
	s_cmp_ge_u32 s1, s4
	s_cselect_b32 s3, s3, s0
	s_add_i32 s3, s3, 1
	v_or_b32_e32 v33, 1, v64
	v_or_b32_e32 v36, 4, v64
	;; [unrolled: 1-line block ×29, first 2 shown]
	v_add_u32_e32 v64, 32, v64
	s_max_u32 s4, s4, 1
	s_branch .LBB227_2
.LBB227_1:                              ;   in Loop: Header=BB227_2 Depth=1
	s_or_b64 exec, exec, s[0:1]
	v_cmp_gt_u32_e32 vcc, s2, v33
	s_waitcnt vmcnt(14)
	v_cndmask_b32_e32 v66, 0, v18, vcc
	v_cmp_gt_u32_e32 vcc, s2, v34
	s_waitcnt vmcnt(13)
	v_cndmask_b32_e32 v67, 0, v17, vcc
	;; [unrolled: 3-line block ×3, first 2 shown]
	v_cmp_gt_u32_e32 vcc, s2, v36
	v_sub_u16_e32 v66, v19, v66
	s_waitcnt vmcnt(11)
	v_cndmask_b32_e32 v69, 0, v29, vcc
	v_cmp_gt_u32_e32 vcc, s2, v37
	v_sub_u16_e32 v67, v18, v67
	v_add_u16_e32 v19, v66, v19
	s_waitcnt vmcnt(10)
	v_cndmask_b32_e32 v66, 0, v28, vcc
	v_cmp_gt_u32_e32 vcc, s2, v38
	v_sub_u16_e32 v68, v17, v68
	v_add_u16_e32 v18, v67, v18
	;; [unrolled: 5-line block ×12, first 2 shown]
	v_cndmask_b32_e32 v69, 0, v8, vcc
	v_cmp_gt_u32_e32 vcc, s2, v49
	v_sub_u16_e32 v67, v20, v67
	v_add_u16_e32 v21, v66, v21
	v_cndmask_b32_e32 v66, 0, v7, vcc
	v_cmp_gt_u32_e32 vcc, s2, v50
	v_sub_u16_e32 v68, v32, v68
	v_add_u16_e32 v20, v67, v20
	;; [unrolled: 4-line block ×14, first 2 shown]
	v_cndmask_b32_e32 v67, 0, v10, vcc
	v_cmp_gt_u32_e32 vcc, s2, v63
	v_add_u16_e32 v14, v68, v14
	v_cndmask_b32_e32 v68, 0, v9, vcc
	s_add_i32 s0, s3, s2
	v_sub_u16_e32 v69, v13, v69
	v_sub_u16_e32 v66, v12, v66
	;; [unrolled: 1-line block ×4, first 2 shown]
	s_and_b32 s2, s0, 0x1fff
	s_add_i32 s4, s4, -1
	v_add_u16_e32 v13, v69, v13
	v_add_u16_e32 v12, v66, v12
	;; [unrolled: 1-line block ×5, first 2 shown]
	s_cmp_lg_u32 s4, 0
	s_barrier
	s_cbranch_scc0 .LBB227_4
.LBB227_2:                              ; =>This Inner Loop Header: Depth=1
	s_waitcnt lgkmcnt(0)
	v_cmp_gt_u32_e32 vcc, s2, v64
	s_waitcnt vmcnt(16)
	v_mov_b32_e32 v65, v9
	s_waitcnt vmcnt(15)
	ds_write_b8 v0, v19 offset:256
	s_waitcnt lgkmcnt(0)
	s_barrier
	s_and_saveexec_b64 s[0:1], vcc
	s_cbranch_execz .LBB227_1
; %bb.3:                                ;   in Loop: Header=BB227_2 Depth=1
	ds_read_u8 v65, v0 offset:257
	s_waitcnt lgkmcnt(0)
	v_sub_u16_e32 v65, v9, v65
	s_branch .LBB227_1
.LBB227_4:
	s_add_u32 s0, s8, s10
	s_addc_u32 s1, s9, 0
	v_mov_b32_e32 v33, s1
	v_add_co_u32_e32 v34, vcc, s0, v0
	v_addc_co_u32_e32 v35, vcc, 0, v33, vcc
	s_movk_i32 s0, 0x1000
	global_store_byte v[34:35], v19, off
	global_store_byte v[34:35], v18, off offset:256
	global_store_byte v[34:35], v17, off offset:512
	;; [unrolled: 1-line block ×15, first 2 shown]
	v_add_co_u32_e32 v18, vcc, s0, v34
	v_addc_co_u32_e32 v19, vcc, 0, v35, vcc
	global_store_byte v[18:19], v8, off
	global_store_byte v[18:19], v7, off offset:256
	global_store_byte v[18:19], v6, off offset:512
	;; [unrolled: 1-line block ×15, first 2 shown]
	s_endpgm
	.section	.rodata,"a",@progbits
	.p2align	6, 0x0
	.amdhsa_kernel _Z6kernelI27subtract_right_partial_tileLj256ELj32ELb1EJPaPiS1_jEEvDpT3_
		.amdhsa_group_segment_fixed_size 512
		.amdhsa_private_segment_fixed_size 0
		.amdhsa_kernarg_size 28
		.amdhsa_user_sgpr_count 6
		.amdhsa_user_sgpr_private_segment_buffer 1
		.amdhsa_user_sgpr_dispatch_ptr 0
		.amdhsa_user_sgpr_queue_ptr 0
		.amdhsa_user_sgpr_kernarg_segment_ptr 1
		.amdhsa_user_sgpr_dispatch_id 0
		.amdhsa_user_sgpr_flat_scratch_init 0
		.amdhsa_user_sgpr_kernarg_preload_length 0
		.amdhsa_user_sgpr_kernarg_preload_offset 0
		.amdhsa_user_sgpr_private_segment_size 0
		.amdhsa_uses_dynamic_stack 0
		.amdhsa_system_sgpr_private_segment_wavefront_offset 0
		.amdhsa_system_sgpr_workgroup_id_x 1
		.amdhsa_system_sgpr_workgroup_id_y 0
		.amdhsa_system_sgpr_workgroup_id_z 0
		.amdhsa_system_sgpr_workgroup_info 0
		.amdhsa_system_vgpr_workitem_id 0
		.amdhsa_next_free_vgpr 70
		.amdhsa_next_free_sgpr 11
		.amdhsa_accum_offset 72
		.amdhsa_reserve_vcc 1
		.amdhsa_reserve_flat_scratch 0
		.amdhsa_float_round_mode_32 0
		.amdhsa_float_round_mode_16_64 0
		.amdhsa_float_denorm_mode_32 3
		.amdhsa_float_denorm_mode_16_64 3
		.amdhsa_dx10_clamp 1
		.amdhsa_ieee_mode 1
		.amdhsa_fp16_overflow 0
		.amdhsa_tg_split 0
		.amdhsa_exception_fp_ieee_invalid_op 0
		.amdhsa_exception_fp_denorm_src 0
		.amdhsa_exception_fp_ieee_div_zero 0
		.amdhsa_exception_fp_ieee_overflow 0
		.amdhsa_exception_fp_ieee_underflow 0
		.amdhsa_exception_fp_ieee_inexact 0
		.amdhsa_exception_int_div_zero 0
	.end_amdhsa_kernel
	.section	.text._Z6kernelI27subtract_right_partial_tileLj256ELj32ELb1EJPaPiS1_jEEvDpT3_,"axG",@progbits,_Z6kernelI27subtract_right_partial_tileLj256ELj32ELb1EJPaPiS1_jEEvDpT3_,comdat
.Lfunc_end227:
	.size	_Z6kernelI27subtract_right_partial_tileLj256ELj32ELb1EJPaPiS1_jEEvDpT3_, .Lfunc_end227-_Z6kernelI27subtract_right_partial_tileLj256ELj32ELb1EJPaPiS1_jEEvDpT3_
                                        ; -- End function
	.section	.AMDGPU.csdata,"",@progbits
; Kernel info:
; codeLenInByte = 1524
; NumSgprs: 15
; NumVgprs: 70
; NumAgprs: 0
; TotalNumVgprs: 70
; ScratchSize: 0
; MemoryBound: 0
; FloatMode: 240
; IeeeMode: 1
; LDSByteSize: 512 bytes/workgroup (compile time only)
; SGPRBlocks: 1
; VGPRBlocks: 8
; NumSGPRsForWavesPerEU: 15
; NumVGPRsForWavesPerEU: 70
; AccumOffset: 72
; Occupancy: 7
; WaveLimiterHint : 1
; COMPUTE_PGM_RSRC2:SCRATCH_EN: 0
; COMPUTE_PGM_RSRC2:USER_SGPR: 6
; COMPUTE_PGM_RSRC2:TRAP_HANDLER: 0
; COMPUTE_PGM_RSRC2:TGID_X_EN: 1
; COMPUTE_PGM_RSRC2:TGID_Y_EN: 0
; COMPUTE_PGM_RSRC2:TGID_Z_EN: 0
; COMPUTE_PGM_RSRC2:TIDIG_COMP_CNT: 0
; COMPUTE_PGM_RSRC3_GFX90A:ACCUM_OFFSET: 17
; COMPUTE_PGM_RSRC3_GFX90A:TG_SPLIT: 0
	.section	.text._Z6kernelI27subtract_right_partial_tileLj256ELj1ELb1EJPxPiS1_jEEvDpT3_,"axG",@progbits,_Z6kernelI27subtract_right_partial_tileLj256ELj1ELb1EJPxPiS1_jEEvDpT3_,comdat
	.protected	_Z6kernelI27subtract_right_partial_tileLj256ELj1ELb1EJPxPiS1_jEEvDpT3_ ; -- Begin function _Z6kernelI27subtract_right_partial_tileLj256ELj1ELb1EJPxPiS1_jEEvDpT3_
	.globl	_Z6kernelI27subtract_right_partial_tileLj256ELj1ELb1EJPxPiS1_jEEvDpT3_
	.p2align	8
	.type	_Z6kernelI27subtract_right_partial_tileLj256ELj1ELb1EJPxPiS1_jEEvDpT3_,@function
_Z6kernelI27subtract_right_partial_tileLj256ELj1ELb1EJPxPiS1_jEEvDpT3_: ; @_Z6kernelI27subtract_right_partial_tileLj256ELj1ELb1EJPxPiS1_jEEvDpT3_
; %bb.0:
	s_load_dwordx4 s[8:11], s[4:5], 0x0
	s_load_dwordx2 s[0:1], s[4:5], 0x10
	s_lshl_b32 s12, s6, 8
	s_mov_b32 s13, 0
	s_lshl_b64 s[2:3], s[12:13], 3
	s_waitcnt lgkmcnt(0)
	s_add_u32 s8, s8, s2
	s_addc_u32 s9, s9, s3
	v_lshlrev_b32_e32 v1, 3, v0
	global_load_dwordx2 v[2:3], v1, s[8:9]
	s_load_dword s8, s[4:5], 0x18
	s_mov_b32 s7, s13
	s_lshl_b64 s[4:5], s[6:7], 2
	s_add_u32 s4, s10, s4
	s_addc_u32 s5, s11, s5
	s_waitcnt lgkmcnt(0)
	v_cvt_f32_u32_e32 v4, s8
	s_load_dword s6, s[4:5], 0x0
	s_sub_i32 s4, 0, s8
	v_add_u32_e32 v6, 1, v0
	v_rcp_iflag_f32_e32 v4, v4
	v_or_b32_e32 v7, 0x800, v1
	v_mul_f32_e32 v4, 0x4f7ffffe, v4
	v_cvt_u32_f32_e32 v4, v4
	v_readfirstlane_b32 s5, v4
	s_mul_i32 s4, s4, s5
	s_mul_hi_u32 s4, s5, s4
	s_add_i32 s5, s5, s4
	s_lshr_b32 s4, s5, 24
	s_mul_i32 s5, s4, s8
	s_sub_i32 s5, 0x100, s5
	s_add_i32 s7, s4, 1
	s_sub_i32 s9, s5, s8
	s_cmp_ge_u32 s5, s8
	s_cselect_b32 s4, s7, s4
	s_cselect_b32 s5, s9, s5
	s_add_i32 s7, s4, 1
	s_cmp_ge_u32 s5, s8
	s_cselect_b32 s7, s7, s4
	s_add_i32 s7, s7, 1
	s_max_u32 s8, s8, 1
	s_branch .LBB228_2
.LBB228_1:                              ;   in Loop: Header=BB228_2 Depth=1
	s_or_b64 exec, exec, s[4:5]
	s_add_i32 s4, s7, s6
	v_add_co_u32_e32 v2, vcc, v4, v2
	s_and_b32 s6, s4, 0xff
	s_add_i32 s8, s8, -1
	v_addc_co_u32_e32 v3, vcc, v5, v3, vcc
	s_cmp_lg_u32 s8, 0
	s_barrier
	s_cbranch_scc0 .LBB228_4
.LBB228_2:                              ; =>This Inner Loop Header: Depth=1
	s_waitcnt lgkmcnt(0)
	v_cmp_gt_u32_e32 vcc, s6, v6
	s_waitcnt vmcnt(0)
	v_pk_mov_b32 v[4:5], v[2:3], v[2:3] op_sel:[0,1]
	ds_write_b64 v1, v[2:3] offset:2048
	s_waitcnt lgkmcnt(0)
	s_barrier
	s_and_saveexec_b64 s[4:5], vcc
	s_cbranch_execz .LBB228_1
; %bb.3:                                ;   in Loop: Header=BB228_2 Depth=1
	ds_read_b64 v[4:5], v7 offset:8
	s_waitcnt lgkmcnt(0)
	v_sub_co_u32_e32 v4, vcc, v2, v4
	v_subb_co_u32_e32 v5, vcc, v3, v5, vcc
	s_branch .LBB228_1
.LBB228_4:
	s_add_u32 s0, s0, s2
	s_addc_u32 s1, s1, s3
	v_lshlrev_b32_e32 v0, 3, v0
	global_store_dwordx2 v0, v[2:3], s[0:1]
	s_endpgm
	.section	.rodata,"a",@progbits
	.p2align	6, 0x0
	.amdhsa_kernel _Z6kernelI27subtract_right_partial_tileLj256ELj1ELb1EJPxPiS1_jEEvDpT3_
		.amdhsa_group_segment_fixed_size 4096
		.amdhsa_private_segment_fixed_size 0
		.amdhsa_kernarg_size 28
		.amdhsa_user_sgpr_count 6
		.amdhsa_user_sgpr_private_segment_buffer 1
		.amdhsa_user_sgpr_dispatch_ptr 0
		.amdhsa_user_sgpr_queue_ptr 0
		.amdhsa_user_sgpr_kernarg_segment_ptr 1
		.amdhsa_user_sgpr_dispatch_id 0
		.amdhsa_user_sgpr_flat_scratch_init 0
		.amdhsa_user_sgpr_kernarg_preload_length 0
		.amdhsa_user_sgpr_kernarg_preload_offset 0
		.amdhsa_user_sgpr_private_segment_size 0
		.amdhsa_uses_dynamic_stack 0
		.amdhsa_system_sgpr_private_segment_wavefront_offset 0
		.amdhsa_system_sgpr_workgroup_id_x 1
		.amdhsa_system_sgpr_workgroup_id_y 0
		.amdhsa_system_sgpr_workgroup_id_z 0
		.amdhsa_system_sgpr_workgroup_info 0
		.amdhsa_system_vgpr_workitem_id 0
		.amdhsa_next_free_vgpr 8
		.amdhsa_next_free_sgpr 14
		.amdhsa_accum_offset 8
		.amdhsa_reserve_vcc 1
		.amdhsa_reserve_flat_scratch 0
		.amdhsa_float_round_mode_32 0
		.amdhsa_float_round_mode_16_64 0
		.amdhsa_float_denorm_mode_32 3
		.amdhsa_float_denorm_mode_16_64 3
		.amdhsa_dx10_clamp 1
		.amdhsa_ieee_mode 1
		.amdhsa_fp16_overflow 0
		.amdhsa_tg_split 0
		.amdhsa_exception_fp_ieee_invalid_op 0
		.amdhsa_exception_fp_denorm_src 0
		.amdhsa_exception_fp_ieee_div_zero 0
		.amdhsa_exception_fp_ieee_overflow 0
		.amdhsa_exception_fp_ieee_underflow 0
		.amdhsa_exception_fp_ieee_inexact 0
		.amdhsa_exception_int_div_zero 0
	.end_amdhsa_kernel
	.section	.text._Z6kernelI27subtract_right_partial_tileLj256ELj1ELb1EJPxPiS1_jEEvDpT3_,"axG",@progbits,_Z6kernelI27subtract_right_partial_tileLj256ELj1ELb1EJPxPiS1_jEEvDpT3_,comdat
.Lfunc_end228:
	.size	_Z6kernelI27subtract_right_partial_tileLj256ELj1ELb1EJPxPiS1_jEEvDpT3_, .Lfunc_end228-_Z6kernelI27subtract_right_partial_tileLj256ELj1ELb1EJPxPiS1_jEEvDpT3_
                                        ; -- End function
	.section	.AMDGPU.csdata,"",@progbits
; Kernel info:
; codeLenInByte = 332
; NumSgprs: 18
; NumVgprs: 8
; NumAgprs: 0
; TotalNumVgprs: 8
; ScratchSize: 0
; MemoryBound: 0
; FloatMode: 240
; IeeeMode: 1
; LDSByteSize: 4096 bytes/workgroup (compile time only)
; SGPRBlocks: 2
; VGPRBlocks: 0
; NumSGPRsForWavesPerEU: 18
; NumVGPRsForWavesPerEU: 8
; AccumOffset: 8
; Occupancy: 8
; WaveLimiterHint : 0
; COMPUTE_PGM_RSRC2:SCRATCH_EN: 0
; COMPUTE_PGM_RSRC2:USER_SGPR: 6
; COMPUTE_PGM_RSRC2:TRAP_HANDLER: 0
; COMPUTE_PGM_RSRC2:TGID_X_EN: 1
; COMPUTE_PGM_RSRC2:TGID_Y_EN: 0
; COMPUTE_PGM_RSRC2:TGID_Z_EN: 0
; COMPUTE_PGM_RSRC2:TIDIG_COMP_CNT: 0
; COMPUTE_PGM_RSRC3_GFX90A:ACCUM_OFFSET: 1
; COMPUTE_PGM_RSRC3_GFX90A:TG_SPLIT: 0
	.section	.text._Z6kernelI27subtract_right_partial_tileLj256ELj3ELb1EJPxPiS1_jEEvDpT3_,"axG",@progbits,_Z6kernelI27subtract_right_partial_tileLj256ELj3ELb1EJPxPiS1_jEEvDpT3_,comdat
	.protected	_Z6kernelI27subtract_right_partial_tileLj256ELj3ELb1EJPxPiS1_jEEvDpT3_ ; -- Begin function _Z6kernelI27subtract_right_partial_tileLj256ELj3ELb1EJPxPiS1_jEEvDpT3_
	.globl	_Z6kernelI27subtract_right_partial_tileLj256ELj3ELb1EJPxPiS1_jEEvDpT3_
	.p2align	8
	.type	_Z6kernelI27subtract_right_partial_tileLj256ELj3ELb1EJPxPiS1_jEEvDpT3_,@function
_Z6kernelI27subtract_right_partial_tileLj256ELj3ELb1EJPxPiS1_jEEvDpT3_: ; @_Z6kernelI27subtract_right_partial_tileLj256ELj3ELb1EJPxPiS1_jEEvDpT3_
; %bb.0:
	s_load_dwordx4 s[0:3], s[4:5], 0x0
	s_load_dwordx2 s[8:9], s[4:5], 0x10
	s_mul_i32 s12, s6, 0x300
	s_mov_b32 s13, 0
	s_lshl_b64 s[10:11], s[12:13], 3
	s_waitcnt lgkmcnt(0)
	s_add_u32 s0, s0, s10
	s_addc_u32 s1, s1, s11
	v_lshlrev_b32_e32 v1, 3, v0
	v_mov_b32_e32 v2, s1
	v_add_co_u32_e32 v6, vcc, s0, v1
	v_addc_co_u32_e32 v7, vcc, 0, v2, vcc
	global_load_dwordx2 v[2:3], v1, s[0:1]
	global_load_dwordx2 v[4:5], v1, s[0:1] offset:2048
	s_movk_i32 s0, 0x1000
	v_add_co_u32_e32 v6, vcc, s0, v6
	v_addc_co_u32_e32 v7, vcc, 0, v7, vcc
	global_load_dwordx2 v[6:7], v[6:7], off
	s_load_dword s4, s[4:5], 0x18
	s_mov_b32 s7, s13
	s_lshl_b64 s[0:1], s[6:7], 2
	s_add_u32 s0, s2, s0
	s_addc_u32 s1, s3, s1
	s_waitcnt lgkmcnt(0)
	v_cvt_f32_u32_e32 v8, s4
	s_load_dword s2, s[0:1], 0x0
	s_sub_i32 s0, 0, s4
	v_mad_u32_u24 v10, v0, 3, 1
	v_rcp_iflag_f32_e32 v8, v8
	v_mad_u32_u24 v11, v0, 3, 2
	v_mad_u32_u24 v12, v0, 3, 3
	v_or_b32_e32 v13, 0x800, v1
	v_mul_f32_e32 v8, 0x4f7ffffe, v8
	v_cvt_u32_f32_e32 v8, v8
	v_readfirstlane_b32 s1, v8
	s_mul_i32 s0, s0, s1
	s_mul_hi_u32 s0, s1, s0
	s_add_i32 s1, s1, s0
	s_mul_hi_u32 s0, s1, 0x300
	s_mul_i32 s1, s0, s4
	s_sub_i32 s1, 0x300, s1
	s_add_i32 s3, s0, 1
	s_sub_i32 s5, s1, s4
	s_cmp_ge_u32 s1, s4
	s_cselect_b32 s0, s3, s0
	s_cselect_b32 s1, s5, s1
	s_add_i32 s3, s0, 1
	s_cmp_ge_u32 s1, s4
	s_cselect_b32 s3, s3, s0
	s_add_i32 s3, s3, 1
	s_max_u32 s4, s4, 1
	s_branch .LBB229_2
.LBB229_1:                              ;   in Loop: Header=BB229_2 Depth=1
	s_or_b64 exec, exec, s[0:1]
	v_cmp_gt_u32_e32 vcc, s2, v10
	v_cndmask_b32_e32 v15, 0, v4, vcc
	v_cndmask_b32_e32 v14, 0, v5, vcc
	v_sub_co_u32_e32 v15, vcc, v2, v15
	v_subb_co_u32_e32 v14, vcc, v3, v14, vcc
	v_cmp_gt_u32_e32 vcc, s2, v11
	v_cndmask_b32_e32 v17, 0, v6, vcc
	v_cndmask_b32_e32 v16, 0, v7, vcc
	v_sub_co_u32_e32 v17, vcc, v4, v17
	v_subb_co_u32_e32 v16, vcc, v5, v16, vcc
	v_add_co_u32_e32 v2, vcc, v15, v2
	s_add_i32 s0, s3, s2
	v_addc_co_u32_e32 v3, vcc, v14, v3, vcc
	s_mul_hi_u32 s1, s0, 0xaaaaaaab
	v_add_co_u32_e32 v4, vcc, v17, v4
	s_lshr_b32 s1, s1, 9
	v_addc_co_u32_e32 v5, vcc, v16, v5, vcc
	s_mulk_i32 s1, 0x300
	v_add_co_u32_e32 v6, vcc, v8, v6
	s_sub_i32 s2, s0, s1
	s_add_i32 s4, s4, -1
	v_addc_co_u32_e32 v7, vcc, v9, v7, vcc
	s_cmp_lg_u32 s4, 0
	s_barrier
	s_cbranch_scc0 .LBB229_4
.LBB229_2:                              ; =>This Inner Loop Header: Depth=1
	s_waitcnt lgkmcnt(0)
	v_cmp_gt_u32_e32 vcc, s2, v12
	s_waitcnt vmcnt(0)
	v_pk_mov_b32 v[8:9], v[6:7], v[6:7] op_sel:[0,1]
	ds_write_b64 v1, v[2:3] offset:2048
	s_waitcnt lgkmcnt(0)
	s_barrier
	s_and_saveexec_b64 s[0:1], vcc
	s_cbranch_execz .LBB229_1
; %bb.3:                                ;   in Loop: Header=BB229_2 Depth=1
	ds_read_b64 v[8:9], v13 offset:8
	s_waitcnt lgkmcnt(0)
	v_sub_co_u32_e32 v8, vcc, v6, v8
	v_subb_co_u32_e32 v9, vcc, v7, v9, vcc
	s_branch .LBB229_1
.LBB229_4:
	s_add_u32 s0, s8, s10
	s_addc_u32 s1, s9, s11
	v_lshlrev_b32_e32 v0, 3, v0
	v_mov_b32_e32 v1, s1
	v_add_co_u32_e32 v8, vcc, s0, v0
	v_addc_co_u32_e32 v1, vcc, 0, v1, vcc
	global_store_dwordx2 v0, v[2:3], s[0:1]
	global_store_dwordx2 v0, v[4:5], s[0:1] offset:2048
	v_add_co_u32_e32 v0, vcc, 0x1000, v8
	v_addc_co_u32_e32 v1, vcc, 0, v1, vcc
	global_store_dwordx2 v[0:1], v[6:7], off
	s_endpgm
	.section	.rodata,"a",@progbits
	.p2align	6, 0x0
	.amdhsa_kernel _Z6kernelI27subtract_right_partial_tileLj256ELj3ELb1EJPxPiS1_jEEvDpT3_
		.amdhsa_group_segment_fixed_size 4096
		.amdhsa_private_segment_fixed_size 0
		.amdhsa_kernarg_size 28
		.amdhsa_user_sgpr_count 6
		.amdhsa_user_sgpr_private_segment_buffer 1
		.amdhsa_user_sgpr_dispatch_ptr 0
		.amdhsa_user_sgpr_queue_ptr 0
		.amdhsa_user_sgpr_kernarg_segment_ptr 1
		.amdhsa_user_sgpr_dispatch_id 0
		.amdhsa_user_sgpr_flat_scratch_init 0
		.amdhsa_user_sgpr_kernarg_preload_length 0
		.amdhsa_user_sgpr_kernarg_preload_offset 0
		.amdhsa_user_sgpr_private_segment_size 0
		.amdhsa_uses_dynamic_stack 0
		.amdhsa_system_sgpr_private_segment_wavefront_offset 0
		.amdhsa_system_sgpr_workgroup_id_x 1
		.amdhsa_system_sgpr_workgroup_id_y 0
		.amdhsa_system_sgpr_workgroup_id_z 0
		.amdhsa_system_sgpr_workgroup_info 0
		.amdhsa_system_vgpr_workitem_id 0
		.amdhsa_next_free_vgpr 18
		.amdhsa_next_free_sgpr 14
		.amdhsa_accum_offset 20
		.amdhsa_reserve_vcc 1
		.amdhsa_reserve_flat_scratch 0
		.amdhsa_float_round_mode_32 0
		.amdhsa_float_round_mode_16_64 0
		.amdhsa_float_denorm_mode_32 3
		.amdhsa_float_denorm_mode_16_64 3
		.amdhsa_dx10_clamp 1
		.amdhsa_ieee_mode 1
		.amdhsa_fp16_overflow 0
		.amdhsa_tg_split 0
		.amdhsa_exception_fp_ieee_invalid_op 0
		.amdhsa_exception_fp_denorm_src 0
		.amdhsa_exception_fp_ieee_div_zero 0
		.amdhsa_exception_fp_ieee_overflow 0
		.amdhsa_exception_fp_ieee_underflow 0
		.amdhsa_exception_fp_ieee_inexact 0
		.amdhsa_exception_int_div_zero 0
	.end_amdhsa_kernel
	.section	.text._Z6kernelI27subtract_right_partial_tileLj256ELj3ELb1EJPxPiS1_jEEvDpT3_,"axG",@progbits,_Z6kernelI27subtract_right_partial_tileLj256ELj3ELb1EJPxPiS1_jEEvDpT3_,comdat
.Lfunc_end229:
	.size	_Z6kernelI27subtract_right_partial_tileLj256ELj3ELb1EJPxPiS1_jEEvDpT3_, .Lfunc_end229-_Z6kernelI27subtract_right_partial_tileLj256ELj3ELb1EJPxPiS1_jEEvDpT3_
                                        ; -- End function
	.section	.AMDGPU.csdata,"",@progbits
; Kernel info:
; codeLenInByte = 508
; NumSgprs: 18
; NumVgprs: 18
; NumAgprs: 0
; TotalNumVgprs: 18
; ScratchSize: 0
; MemoryBound: 0
; FloatMode: 240
; IeeeMode: 1
; LDSByteSize: 4096 bytes/workgroup (compile time only)
; SGPRBlocks: 2
; VGPRBlocks: 2
; NumSGPRsForWavesPerEU: 18
; NumVGPRsForWavesPerEU: 18
; AccumOffset: 20
; Occupancy: 8
; WaveLimiterHint : 1
; COMPUTE_PGM_RSRC2:SCRATCH_EN: 0
; COMPUTE_PGM_RSRC2:USER_SGPR: 6
; COMPUTE_PGM_RSRC2:TRAP_HANDLER: 0
; COMPUTE_PGM_RSRC2:TGID_X_EN: 1
; COMPUTE_PGM_RSRC2:TGID_Y_EN: 0
; COMPUTE_PGM_RSRC2:TGID_Z_EN: 0
; COMPUTE_PGM_RSRC2:TIDIG_COMP_CNT: 0
; COMPUTE_PGM_RSRC3_GFX90A:ACCUM_OFFSET: 4
; COMPUTE_PGM_RSRC3_GFX90A:TG_SPLIT: 0
	.section	.text._Z6kernelI27subtract_right_partial_tileLj256ELj4ELb1EJPxPiS1_jEEvDpT3_,"axG",@progbits,_Z6kernelI27subtract_right_partial_tileLj256ELj4ELb1EJPxPiS1_jEEvDpT3_,comdat
	.protected	_Z6kernelI27subtract_right_partial_tileLj256ELj4ELb1EJPxPiS1_jEEvDpT3_ ; -- Begin function _Z6kernelI27subtract_right_partial_tileLj256ELj4ELb1EJPxPiS1_jEEvDpT3_
	.globl	_Z6kernelI27subtract_right_partial_tileLj256ELj4ELb1EJPxPiS1_jEEvDpT3_
	.p2align	8
	.type	_Z6kernelI27subtract_right_partial_tileLj256ELj4ELb1EJPxPiS1_jEEvDpT3_,@function
_Z6kernelI27subtract_right_partial_tileLj256ELj4ELb1EJPxPiS1_jEEvDpT3_: ; @_Z6kernelI27subtract_right_partial_tileLj256ELj4ELb1EJPxPiS1_jEEvDpT3_
; %bb.0:
	s_load_dwordx4 s[0:3], s[4:5], 0x0
	s_load_dwordx2 s[8:9], s[4:5], 0x10
	s_lshl_b32 s12, s6, 10
	s_mov_b32 s13, 0
	s_lshl_b64 s[10:11], s[12:13], 3
	s_waitcnt lgkmcnt(0)
	s_add_u32 s0, s0, s10
	s_addc_u32 s1, s1, s11
	v_lshlrev_b32_e32 v1, 3, v0
	v_mov_b32_e32 v2, s1
	v_add_co_u32_e32 v6, vcc, s0, v1
	v_addc_co_u32_e32 v7, vcc, 0, v2, vcc
	global_load_dwordx2 v[2:3], v1, s[0:1]
	global_load_dwordx2 v[4:5], v1, s[0:1] offset:2048
	s_movk_i32 s0, 0x1000
	v_add_co_u32_e32 v10, vcc, s0, v6
	v_addc_co_u32_e32 v11, vcc, 0, v7, vcc
	global_load_dwordx2 v[6:7], v[10:11], off
	global_load_dwordx2 v[8:9], v[10:11], off offset:2048
	s_load_dword s4, s[4:5], 0x18
	s_mov_b32 s7, s13
	s_lshl_b64 s[0:1], s[6:7], 2
	s_add_u32 s0, s2, s0
	s_addc_u32 s1, s3, s1
	s_waitcnt lgkmcnt(0)
	v_cvt_f32_u32_e32 v10, s4
	s_load_dword s2, s[0:1], 0x0
	s_sub_i32 s0, 0, s4
	v_or_b32_e32 v16, 0x800, v1
	v_rcp_iflag_f32_e32 v10, v10
	v_mul_f32_e32 v10, 0x4f7ffffe, v10
	v_cvt_u32_f32_e32 v10, v10
	v_readfirstlane_b32 s1, v10
	s_mul_i32 s0, s0, s1
	s_mul_hi_u32 s0, s1, s0
	s_add_i32 s1, s1, s0
	s_lshr_b32 s0, s1, 22
	s_mul_i32 s1, s0, s4
	s_sub_i32 s1, 0x400, s1
	s_add_i32 s3, s0, 1
	s_sub_i32 s5, s1, s4
	s_cmp_ge_u32 s1, s4
	s_cselect_b32 s0, s3, s0
	s_cselect_b32 s1, s5, s1
	s_add_i32 s3, s0, 1
	s_cmp_ge_u32 s1, s4
	s_cselect_b32 s3, s3, s0
	v_lshlrev_b32_e32 v10, 2, v0
	s_add_i32 s3, s3, 1
	v_or_b32_e32 v12, 1, v10
	v_or_b32_e32 v13, 2, v10
	;; [unrolled: 1-line block ×3, first 2 shown]
	v_add_u32_e32 v15, 4, v10
	s_max_u32 s4, s4, 1
	s_branch .LBB230_2
.LBB230_1:                              ;   in Loop: Header=BB230_2 Depth=1
	s_or_b64 exec, exec, s[0:1]
	v_cmp_gt_u32_e32 vcc, s2, v12
	v_cndmask_b32_e32 v18, 0, v4, vcc
	v_cndmask_b32_e32 v17, 0, v5, vcc
	v_sub_co_u32_e32 v18, vcc, v2, v18
	v_subb_co_u32_e32 v17, vcc, v3, v17, vcc
	v_cmp_gt_u32_e32 vcc, s2, v13
	v_cndmask_b32_e32 v20, 0, v6, vcc
	v_cndmask_b32_e32 v19, 0, v7, vcc
	v_sub_co_u32_e32 v20, vcc, v4, v20
	v_subb_co_u32_e32 v19, vcc, v5, v19, vcc
	;; [unrolled: 5-line block ×3, first 2 shown]
	v_add_co_u32_e32 v2, vcc, v18, v2
	v_addc_co_u32_e32 v3, vcc, v17, v3, vcc
	v_add_co_u32_e32 v4, vcc, v20, v4
	v_addc_co_u32_e32 v5, vcc, v19, v5, vcc
	;; [unrolled: 2-line block ×3, first 2 shown]
	s_add_i32 s0, s3, s2
	v_add_co_u32_e32 v8, vcc, v10, v8
	s_and_b32 s2, s0, 0x3ff
	s_add_i32 s4, s4, -1
	v_addc_co_u32_e32 v9, vcc, v11, v9, vcc
	s_cmp_lg_u32 s4, 0
	s_barrier
	s_cbranch_scc0 .LBB230_4
.LBB230_2:                              ; =>This Inner Loop Header: Depth=1
	s_waitcnt lgkmcnt(0)
	v_cmp_gt_u32_e32 vcc, s2, v15
	s_waitcnt vmcnt(0)
	v_pk_mov_b32 v[10:11], v[8:9], v[8:9] op_sel:[0,1]
	ds_write_b64 v1, v[2:3] offset:2048
	s_waitcnt lgkmcnt(0)
	s_barrier
	s_and_saveexec_b64 s[0:1], vcc
	s_cbranch_execz .LBB230_1
; %bb.3:                                ;   in Loop: Header=BB230_2 Depth=1
	ds_read_b64 v[10:11], v16 offset:8
	s_waitcnt lgkmcnt(0)
	v_sub_co_u32_e32 v10, vcc, v8, v10
	v_subb_co_u32_e32 v11, vcc, v9, v11, vcc
	s_branch .LBB230_1
.LBB230_4:
	s_add_u32 s0, s8, s10
	s_addc_u32 s1, s9, s11
	v_lshlrev_b32_e32 v0, 3, v0
	v_mov_b32_e32 v1, s1
	v_add_co_u32_e32 v10, vcc, s0, v0
	v_addc_co_u32_e32 v1, vcc, 0, v1, vcc
	global_store_dwordx2 v0, v[2:3], s[0:1]
	global_store_dwordx2 v0, v[4:5], s[0:1] offset:2048
	v_add_co_u32_e32 v0, vcc, 0x1000, v10
	v_addc_co_u32_e32 v1, vcc, 0, v1, vcc
	global_store_dwordx2 v[0:1], v[6:7], off
	global_store_dwordx2 v[0:1], v[8:9], off offset:2048
	s_endpgm
	.section	.rodata,"a",@progbits
	.p2align	6, 0x0
	.amdhsa_kernel _Z6kernelI27subtract_right_partial_tileLj256ELj4ELb1EJPxPiS1_jEEvDpT3_
		.amdhsa_group_segment_fixed_size 4096
		.amdhsa_private_segment_fixed_size 0
		.amdhsa_kernarg_size 28
		.amdhsa_user_sgpr_count 6
		.amdhsa_user_sgpr_private_segment_buffer 1
		.amdhsa_user_sgpr_dispatch_ptr 0
		.amdhsa_user_sgpr_queue_ptr 0
		.amdhsa_user_sgpr_kernarg_segment_ptr 1
		.amdhsa_user_sgpr_dispatch_id 0
		.amdhsa_user_sgpr_flat_scratch_init 0
		.amdhsa_user_sgpr_kernarg_preload_length 0
		.amdhsa_user_sgpr_kernarg_preload_offset 0
		.amdhsa_user_sgpr_private_segment_size 0
		.amdhsa_uses_dynamic_stack 0
		.amdhsa_system_sgpr_private_segment_wavefront_offset 0
		.amdhsa_system_sgpr_workgroup_id_x 1
		.amdhsa_system_sgpr_workgroup_id_y 0
		.amdhsa_system_sgpr_workgroup_id_z 0
		.amdhsa_system_sgpr_workgroup_info 0
		.amdhsa_system_vgpr_workitem_id 0
		.amdhsa_next_free_vgpr 23
		.amdhsa_next_free_sgpr 14
		.amdhsa_accum_offset 24
		.amdhsa_reserve_vcc 1
		.amdhsa_reserve_flat_scratch 0
		.amdhsa_float_round_mode_32 0
		.amdhsa_float_round_mode_16_64 0
		.amdhsa_float_denorm_mode_32 3
		.amdhsa_float_denorm_mode_16_64 3
		.amdhsa_dx10_clamp 1
		.amdhsa_ieee_mode 1
		.amdhsa_fp16_overflow 0
		.amdhsa_tg_split 0
		.amdhsa_exception_fp_ieee_invalid_op 0
		.amdhsa_exception_fp_denorm_src 0
		.amdhsa_exception_fp_ieee_div_zero 0
		.amdhsa_exception_fp_ieee_overflow 0
		.amdhsa_exception_fp_ieee_underflow 0
		.amdhsa_exception_fp_ieee_inexact 0
		.amdhsa_exception_int_div_zero 0
	.end_amdhsa_kernel
	.section	.text._Z6kernelI27subtract_right_partial_tileLj256ELj4ELb1EJPxPiS1_jEEvDpT3_,"axG",@progbits,_Z6kernelI27subtract_right_partial_tileLj256ELj4ELb1EJPxPiS1_jEEvDpT3_,comdat
.Lfunc_end230:
	.size	_Z6kernelI27subtract_right_partial_tileLj256ELj4ELb1EJPxPiS1_jEEvDpT3_, .Lfunc_end230-_Z6kernelI27subtract_right_partial_tileLj256ELj4ELb1EJPxPiS1_jEEvDpT3_
                                        ; -- End function
	.section	.AMDGPU.csdata,"",@progbits
; Kernel info:
; codeLenInByte = 528
; NumSgprs: 18
; NumVgprs: 23
; NumAgprs: 0
; TotalNumVgprs: 23
; ScratchSize: 0
; MemoryBound: 0
; FloatMode: 240
; IeeeMode: 1
; LDSByteSize: 4096 bytes/workgroup (compile time only)
; SGPRBlocks: 2
; VGPRBlocks: 2
; NumSGPRsForWavesPerEU: 18
; NumVGPRsForWavesPerEU: 23
; AccumOffset: 24
; Occupancy: 8
; WaveLimiterHint : 1
; COMPUTE_PGM_RSRC2:SCRATCH_EN: 0
; COMPUTE_PGM_RSRC2:USER_SGPR: 6
; COMPUTE_PGM_RSRC2:TRAP_HANDLER: 0
; COMPUTE_PGM_RSRC2:TGID_X_EN: 1
; COMPUTE_PGM_RSRC2:TGID_Y_EN: 0
; COMPUTE_PGM_RSRC2:TGID_Z_EN: 0
; COMPUTE_PGM_RSRC2:TIDIG_COMP_CNT: 0
; COMPUTE_PGM_RSRC3_GFX90A:ACCUM_OFFSET: 5
; COMPUTE_PGM_RSRC3_GFX90A:TG_SPLIT: 0
	.section	.text._Z6kernelI27subtract_right_partial_tileLj256ELj8ELb1EJPxPiS1_jEEvDpT3_,"axG",@progbits,_Z6kernelI27subtract_right_partial_tileLj256ELj8ELb1EJPxPiS1_jEEvDpT3_,comdat
	.protected	_Z6kernelI27subtract_right_partial_tileLj256ELj8ELb1EJPxPiS1_jEEvDpT3_ ; -- Begin function _Z6kernelI27subtract_right_partial_tileLj256ELj8ELb1EJPxPiS1_jEEvDpT3_
	.globl	_Z6kernelI27subtract_right_partial_tileLj256ELj8ELb1EJPxPiS1_jEEvDpT3_
	.p2align	8
	.type	_Z6kernelI27subtract_right_partial_tileLj256ELj8ELb1EJPxPiS1_jEEvDpT3_,@function
_Z6kernelI27subtract_right_partial_tileLj256ELj8ELb1EJPxPiS1_jEEvDpT3_: ; @_Z6kernelI27subtract_right_partial_tileLj256ELj8ELb1EJPxPiS1_jEEvDpT3_
; %bb.0:
	s_load_dwordx4 s[0:3], s[4:5], 0x0
	s_load_dwordx2 s[8:9], s[4:5], 0x10
	s_lshl_b32 s12, s6, 11
	s_mov_b32 s13, 0
	s_lshl_b64 s[10:11], s[12:13], 3
	s_waitcnt lgkmcnt(0)
	s_add_u32 s0, s0, s10
	s_addc_u32 s1, s1, s11
	v_lshlrev_b32_e32 v1, 3, v0
	v_mov_b32_e32 v2, s1
	v_add_co_u32_e32 v12, vcc, s0, v1
	v_addc_co_u32_e32 v13, vcc, 0, v2, vcc
	global_load_dwordx2 v[4:5], v1, s[0:1]
	global_load_dwordx2 v[2:3], v1, s[0:1] offset:2048
	s_movk_i32 s0, 0x1000
	v_add_co_u32_e32 v18, vcc, s0, v12
	v_addc_co_u32_e32 v19, vcc, 0, v13, vcc
	s_movk_i32 s0, 0x2000
	v_add_co_u32_e32 v10, vcc, s0, v12
	v_addc_co_u32_e32 v11, vcc, 0, v13, vcc
	s_movk_i32 s0, 0x3000
	v_add_co_u32_e32 v20, vcc, s0, v12
	global_load_dwordx2 v[14:15], v[10:11], off offset:-4096
	global_load_dwordx2 v[8:9], v[10:11], off
	global_load_dwordx2 v[6:7], v[10:11], off offset:2048
	v_addc_co_u32_e32 v21, vcc, 0, v13, vcc
	global_load_dwordx2 v[16:17], v[18:19], off offset:2048
	global_load_dwordx2 v[12:13], v[20:21], off
	global_load_dwordx2 v[10:11], v[20:21], off offset:2048
	s_load_dword s4, s[4:5], 0x18
	s_mov_b32 s7, s13
	s_lshl_b64 s[0:1], s[6:7], 2
	s_add_u32 s0, s2, s0
	s_addc_u32 s1, s3, s1
	s_waitcnt lgkmcnt(0)
	v_cvt_f32_u32_e32 v18, s4
	s_load_dword s2, s[0:1], 0x0
	s_sub_i32 s0, 0, s4
	v_or_b32_e32 v20, 1, v1
	v_rcp_iflag_f32_e32 v18, v18
	v_or_b32_e32 v21, 2, v1
	v_or_b32_e32 v22, 3, v1
	;; [unrolled: 1-line block ×3, first 2 shown]
	v_mul_f32_e32 v18, 0x4f7ffffe, v18
	v_cvt_u32_f32_e32 v18, v18
	v_or_b32_e32 v24, 5, v1
	v_or_b32_e32 v25, 6, v1
	;; [unrolled: 1-line block ×3, first 2 shown]
	v_readfirstlane_b32 s1, v18
	s_mul_i32 s0, s0, s1
	s_mul_hi_u32 s0, s1, s0
	s_add_i32 s1, s1, s0
	s_lshr_b32 s0, s1, 21
	s_mul_i32 s1, s0, s4
	s_sub_i32 s1, 0x800, s1
	s_add_i32 s3, s0, 1
	s_sub_i32 s5, s1, s4
	s_cmp_ge_u32 s1, s4
	s_cselect_b32 s0, s3, s0
	s_cselect_b32 s1, s5, s1
	s_add_i32 s3, s0, 1
	s_cmp_ge_u32 s1, s4
	s_cselect_b32 s3, s3, s0
	s_add_i32 s3, s3, 1
	v_add_u32_e32 v27, 8, v1
	v_or_b32_e32 v28, 0x800, v1
	s_max_u32 s4, s4, 1
	s_branch .LBB231_2
.LBB231_1:                              ;   in Loop: Header=BB231_2 Depth=1
	s_or_b64 exec, exec, s[0:1]
	v_cmp_gt_u32_e32 vcc, s2, v20
	v_cndmask_b32_e32 v30, 0, v2, vcc
	v_cndmask_b32_e32 v29, 0, v3, vcc
	v_sub_co_u32_e32 v30, vcc, v4, v30
	v_subb_co_u32_e32 v29, vcc, v5, v29, vcc
	v_cmp_gt_u32_e32 vcc, s2, v21
	v_cndmask_b32_e32 v32, 0, v14, vcc
	v_cndmask_b32_e32 v31, 0, v15, vcc
	v_sub_co_u32_e32 v32, vcc, v2, v32
	v_subb_co_u32_e32 v31, vcc, v3, v31, vcc
	;; [unrolled: 5-line block ×7, first 2 shown]
	v_add_co_u32_e32 v4, vcc, v30, v4
	v_addc_co_u32_e32 v5, vcc, v29, v5, vcc
	v_add_co_u32_e32 v2, vcc, v32, v2
	v_addc_co_u32_e32 v3, vcc, v31, v3, vcc
	;; [unrolled: 2-line block ×7, first 2 shown]
	s_add_i32 s0, s3, s2
	v_add_co_u32_e32 v10, vcc, v18, v10
	s_and_b32 s2, s0, 0x7ff
	s_add_i32 s4, s4, -1
	v_addc_co_u32_e32 v11, vcc, v19, v11, vcc
	s_cmp_lg_u32 s4, 0
	s_barrier
	s_cbranch_scc0 .LBB231_4
.LBB231_2:                              ; =>This Inner Loop Header: Depth=1
	s_waitcnt lgkmcnt(0)
	v_cmp_gt_u32_e32 vcc, s2, v27
	s_waitcnt vmcnt(0)
	v_pk_mov_b32 v[18:19], v[10:11], v[10:11] op_sel:[0,1]
	ds_write_b64 v1, v[4:5] offset:2048
	s_waitcnt lgkmcnt(0)
	s_barrier
	s_and_saveexec_b64 s[0:1], vcc
	s_cbranch_execz .LBB231_1
; %bb.3:                                ;   in Loop: Header=BB231_2 Depth=1
	ds_read_b64 v[18:19], v28 offset:8
	s_waitcnt lgkmcnt(0)
	v_sub_co_u32_e32 v18, vcc, v10, v18
	v_subb_co_u32_e32 v19, vcc, v11, v19, vcc
	s_branch .LBB231_1
.LBB231_4:
	s_add_u32 s0, s8, s10
	s_addc_u32 s1, s9, s11
	v_lshlrev_b32_e32 v0, 3, v0
	v_mov_b32_e32 v1, s1
	v_add_co_u32_e32 v18, vcc, s0, v0
	v_addc_co_u32_e32 v19, vcc, 0, v1, vcc
	global_store_dwordx2 v0, v[4:5], s[0:1]
	global_store_dwordx2 v0, v[2:3], s[0:1] offset:2048
	v_add_co_u32_e32 v0, vcc, 0x1000, v18
	v_addc_co_u32_e32 v1, vcc, 0, v19, vcc
	global_store_dwordx2 v[0:1], v[14:15], off
	global_store_dwordx2 v[0:1], v[16:17], off offset:2048
	v_add_co_u32_e32 v0, vcc, 0x2000, v18
	v_addc_co_u32_e32 v1, vcc, 0, v19, vcc
	global_store_dwordx2 v[0:1], v[8:9], off
	global_store_dwordx2 v[0:1], v[6:7], off offset:2048
	;; [unrolled: 4-line block ×3, first 2 shown]
	s_endpgm
	.section	.rodata,"a",@progbits
	.p2align	6, 0x0
	.amdhsa_kernel _Z6kernelI27subtract_right_partial_tileLj256ELj8ELb1EJPxPiS1_jEEvDpT3_
		.amdhsa_group_segment_fixed_size 4096
		.amdhsa_private_segment_fixed_size 0
		.amdhsa_kernarg_size 28
		.amdhsa_user_sgpr_count 6
		.amdhsa_user_sgpr_private_segment_buffer 1
		.amdhsa_user_sgpr_dispatch_ptr 0
		.amdhsa_user_sgpr_queue_ptr 0
		.amdhsa_user_sgpr_kernarg_segment_ptr 1
		.amdhsa_user_sgpr_dispatch_id 0
		.amdhsa_user_sgpr_flat_scratch_init 0
		.amdhsa_user_sgpr_kernarg_preload_length 0
		.amdhsa_user_sgpr_kernarg_preload_offset 0
		.amdhsa_user_sgpr_private_segment_size 0
		.amdhsa_uses_dynamic_stack 0
		.amdhsa_system_sgpr_private_segment_wavefront_offset 0
		.amdhsa_system_sgpr_workgroup_id_x 1
		.amdhsa_system_sgpr_workgroup_id_y 0
		.amdhsa_system_sgpr_workgroup_id_z 0
		.amdhsa_system_sgpr_workgroup_info 0
		.amdhsa_system_vgpr_workitem_id 0
		.amdhsa_next_free_vgpr 43
		.amdhsa_next_free_sgpr 14
		.amdhsa_accum_offset 44
		.amdhsa_reserve_vcc 1
		.amdhsa_reserve_flat_scratch 0
		.amdhsa_float_round_mode_32 0
		.amdhsa_float_round_mode_16_64 0
		.amdhsa_float_denorm_mode_32 3
		.amdhsa_float_denorm_mode_16_64 3
		.amdhsa_dx10_clamp 1
		.amdhsa_ieee_mode 1
		.amdhsa_fp16_overflow 0
		.amdhsa_tg_split 0
		.amdhsa_exception_fp_ieee_invalid_op 0
		.amdhsa_exception_fp_denorm_src 0
		.amdhsa_exception_fp_ieee_div_zero 0
		.amdhsa_exception_fp_ieee_overflow 0
		.amdhsa_exception_fp_ieee_underflow 0
		.amdhsa_exception_fp_ieee_inexact 0
		.amdhsa_exception_int_div_zero 0
	.end_amdhsa_kernel
	.section	.text._Z6kernelI27subtract_right_partial_tileLj256ELj8ELb1EJPxPiS1_jEEvDpT3_,"axG",@progbits,_Z6kernelI27subtract_right_partial_tileLj256ELj8ELb1EJPxPiS1_jEEvDpT3_,comdat
.Lfunc_end231:
	.size	_Z6kernelI27subtract_right_partial_tileLj256ELj8ELb1EJPxPiS1_jEEvDpT3_, .Lfunc_end231-_Z6kernelI27subtract_right_partial_tileLj256ELj8ELb1EJPxPiS1_jEEvDpT3_
                                        ; -- End function
	.section	.AMDGPU.csdata,"",@progbits
; Kernel info:
; codeLenInByte = 764
; NumSgprs: 18
; NumVgprs: 43
; NumAgprs: 0
; TotalNumVgprs: 43
; ScratchSize: 0
; MemoryBound: 0
; FloatMode: 240
; IeeeMode: 1
; LDSByteSize: 4096 bytes/workgroup (compile time only)
; SGPRBlocks: 2
; VGPRBlocks: 5
; NumSGPRsForWavesPerEU: 18
; NumVGPRsForWavesPerEU: 43
; AccumOffset: 44
; Occupancy: 8
; WaveLimiterHint : 1
; COMPUTE_PGM_RSRC2:SCRATCH_EN: 0
; COMPUTE_PGM_RSRC2:USER_SGPR: 6
; COMPUTE_PGM_RSRC2:TRAP_HANDLER: 0
; COMPUTE_PGM_RSRC2:TGID_X_EN: 1
; COMPUTE_PGM_RSRC2:TGID_Y_EN: 0
; COMPUTE_PGM_RSRC2:TGID_Z_EN: 0
; COMPUTE_PGM_RSRC2:TIDIG_COMP_CNT: 0
; COMPUTE_PGM_RSRC3_GFX90A:ACCUM_OFFSET: 10
; COMPUTE_PGM_RSRC3_GFX90A:TG_SPLIT: 0
	.section	.text._Z6kernelI27subtract_right_partial_tileLj256ELj16ELb1EJPxPiS1_jEEvDpT3_,"axG",@progbits,_Z6kernelI27subtract_right_partial_tileLj256ELj16ELb1EJPxPiS1_jEEvDpT3_,comdat
	.protected	_Z6kernelI27subtract_right_partial_tileLj256ELj16ELb1EJPxPiS1_jEEvDpT3_ ; -- Begin function _Z6kernelI27subtract_right_partial_tileLj256ELj16ELb1EJPxPiS1_jEEvDpT3_
	.globl	_Z6kernelI27subtract_right_partial_tileLj256ELj16ELb1EJPxPiS1_jEEvDpT3_
	.p2align	8
	.type	_Z6kernelI27subtract_right_partial_tileLj256ELj16ELb1EJPxPiS1_jEEvDpT3_,@function
_Z6kernelI27subtract_right_partial_tileLj256ELj16ELb1EJPxPiS1_jEEvDpT3_: ; @_Z6kernelI27subtract_right_partial_tileLj256ELj16ELb1EJPxPiS1_jEEvDpT3_
; %bb.0:
	s_load_dwordx4 s[0:3], s[4:5], 0x0
	s_load_dwordx2 s[8:9], s[4:5], 0x10
	s_lshl_b32 s12, s6, 12
	s_mov_b32 s13, 0
	s_lshl_b64 s[10:11], s[12:13], 3
	s_waitcnt lgkmcnt(0)
	s_add_u32 s0, s0, s10
	s_addc_u32 s1, s1, s11
	v_lshlrev_b32_e32 v1, 3, v0
	v_mov_b32_e32 v2, s1
	v_add_co_u32_e32 v28, vcc, s0, v1
	v_addc_co_u32_e32 v29, vcc, 0, v2, vcc
	global_load_dwordx2 v[4:5], v1, s[0:1]
	global_load_dwordx2 v[2:3], v1, s[0:1] offset:2048
	s_movk_i32 s0, 0x1000
	v_add_co_u32_e32 v34, vcc, s0, v28
	v_addc_co_u32_e32 v35, vcc, 0, v29, vcc
	s_movk_i32 s0, 0x2000
	v_add_co_u32_e32 v6, vcc, s0, v28
	v_addc_co_u32_e32 v7, vcc, 0, v29, vcc
	;; [unrolled: 3-line block ×6, first 2 shown]
	s_movk_i32 s0, 0x7000
	v_add_co_u32_e32 v40, vcc, s0, v28
	global_load_dwordx2 v[26:27], v[6:7], off offset:-4096
	global_load_dwordx2 v[20:21], v[6:7], off
	global_load_dwordx2 v[18:19], v[6:7], off offset:2048
	global_load_dwordx2 v[10:11], v[12:13], off offset:-4096
	global_load_dwordx2 v[24:25], v[12:13], off
	global_load_dwordx2 v[22:23], v[12:13], off offset:2048
	;; [unrolled: 3-line block ×3, first 2 shown]
	v_addc_co_u32_e32 v41, vcc, 0, v29, vcc
	global_load_dwordx2 v[32:33], v[34:35], off offset:2048
	global_load_dwordx2 v[30:31], v[36:37], off offset:2048
	;; [unrolled: 1-line block ×3, first 2 shown]
	global_load_dwordx2 v[14:15], v[40:41], off
	global_load_dwordx2 v[12:13], v[40:41], off offset:2048
	s_load_dword s4, s[4:5], 0x18
	s_mov_b32 s7, s13
	s_lshl_b64 s[0:1], s[6:7], 2
	s_add_u32 s0, s2, s0
	s_addc_u32 s1, s3, s1
	s_waitcnt lgkmcnt(0)
	v_cvt_f32_u32_e32 v34, s4
	s_load_dword s2, s[0:1], 0x0
	s_sub_i32 s0, 0, s4
	v_or_b32_e32 v52, 0x800, v1
	v_rcp_iflag_f32_e32 v34, v34
	v_mul_f32_e32 v34, 0x4f7ffffe, v34
	v_cvt_u32_f32_e32 v34, v34
	v_readfirstlane_b32 s1, v34
	s_mul_i32 s0, s0, s1
	s_mul_hi_u32 s0, s1, s0
	s_add_i32 s1, s1, s0
	s_lshr_b32 s0, s1, 20
	s_mul_i32 s1, s0, s4
	s_sub_i32 s1, 0x1000, s1
	s_add_i32 s3, s0, 1
	s_sub_i32 s5, s1, s4
	s_cmp_ge_u32 s1, s4
	s_cselect_b32 s0, s3, s0
	s_cselect_b32 s1, s5, s1
	s_add_i32 s3, s0, 1
	s_cmp_ge_u32 s1, s4
	s_cselect_b32 s3, s3, s0
	v_lshlrev_b32_e32 v34, 4, v0
	s_add_i32 s3, s3, 1
	v_or_b32_e32 v36, 1, v34
	v_or_b32_e32 v37, 2, v34
	;; [unrolled: 1-line block ×15, first 2 shown]
	v_add_u32_e32 v51, 16, v34
	s_max_u32 s4, s4, 1
	s_branch .LBB232_2
.LBB232_1:                              ;   in Loop: Header=BB232_2 Depth=1
	s_or_b64 exec, exec, s[0:1]
	v_cmp_gt_u32_e32 vcc, s2, v36
	v_cndmask_b32_e32 v54, 0, v2, vcc
	v_cndmask_b32_e32 v53, 0, v3, vcc
	v_sub_co_u32_e32 v54, vcc, v4, v54
	v_subb_co_u32_e32 v53, vcc, v5, v53, vcc
	v_cmp_gt_u32_e32 vcc, s2, v37
	v_cndmask_b32_e32 v56, 0, v26, vcc
	v_cndmask_b32_e32 v55, 0, v27, vcc
	v_sub_co_u32_e32 v56, vcc, v2, v56
	v_subb_co_u32_e32 v55, vcc, v3, v55, vcc
	v_cmp_gt_u32_e32 vcc, s2, v38
	v_add_co_u32_e64 v4, s[0:1], v54, v4
	v_addc_co_u32_e64 v5, s[0:1], v53, v5, s[0:1]
	v_cndmask_b32_e32 v53, 0, v32, vcc
	v_cndmask_b32_e32 v54, 0, v33, vcc
	v_sub_co_u32_e32 v53, vcc, v26, v53
	v_subb_co_u32_e32 v54, vcc, v27, v54, vcc
	v_cmp_gt_u32_e32 vcc, s2, v39
	v_add_co_u32_e64 v2, s[0:1], v56, v2
	v_addc_co_u32_e64 v3, s[0:1], v55, v3, s[0:1]
	;; [unrolled: 7-line block ×13, first 2 shown]
	v_cndmask_b32_e32 v53, 0, v12, vcc
	v_cndmask_b32_e32 v54, 0, v13, vcc
	v_sub_co_u32_e32 v53, vcc, v14, v53
	v_subb_co_u32_e32 v54, vcc, v15, v54, vcc
	v_add_co_u32_e32 v6, vcc, v56, v6
	v_addc_co_u32_e32 v7, vcc, v55, v7, vcc
	v_add_co_u32_e32 v14, vcc, v53, v14
	v_addc_co_u32_e32 v15, vcc, v54, v15, vcc
	s_add_i32 s0, s3, s2
	v_add_co_u32_e32 v12, vcc, v34, v12
	s_and_b32 s2, s0, 0xfff
	s_add_i32 s4, s4, -1
	v_addc_co_u32_e32 v13, vcc, v35, v13, vcc
	s_cmp_lg_u32 s4, 0
	s_barrier
	s_cbranch_scc0 .LBB232_4
.LBB232_2:                              ; =>This Inner Loop Header: Depth=1
	s_waitcnt lgkmcnt(0)
	v_cmp_gt_u32_e32 vcc, s2, v51
	s_waitcnt vmcnt(0)
	v_pk_mov_b32 v[34:35], v[12:13], v[12:13] op_sel:[0,1]
	ds_write_b64 v1, v[4:5] offset:2048
	s_waitcnt lgkmcnt(0)
	s_barrier
	s_and_saveexec_b64 s[0:1], vcc
	s_cbranch_execz .LBB232_1
; %bb.3:                                ;   in Loop: Header=BB232_2 Depth=1
	ds_read_b64 v[34:35], v52 offset:8
	s_waitcnt lgkmcnt(0)
	v_sub_co_u32_e32 v34, vcc, v12, v34
	v_subb_co_u32_e32 v35, vcc, v13, v35, vcc
	s_branch .LBB232_1
.LBB232_4:
	s_add_u32 s0, s8, s10
	s_addc_u32 s1, s9, s11
	v_lshlrev_b32_e32 v0, 3, v0
	v_mov_b32_e32 v1, s1
	v_add_co_u32_e32 v34, vcc, s0, v0
	v_addc_co_u32_e32 v35, vcc, 0, v1, vcc
	global_store_dwordx2 v0, v[4:5], s[0:1]
	global_store_dwordx2 v0, v[2:3], s[0:1] offset:2048
	v_add_co_u32_e32 v0, vcc, 0x1000, v34
	v_addc_co_u32_e32 v1, vcc, 0, v35, vcc
	global_store_dwordx2 v[0:1], v[26:27], off
	global_store_dwordx2 v[0:1], v[32:33], off offset:2048
	v_add_co_u32_e32 v0, vcc, 0x2000, v34
	v_addc_co_u32_e32 v1, vcc, 0, v35, vcc
	global_store_dwordx2 v[0:1], v[20:21], off
	global_store_dwordx2 v[0:1], v[18:19], off offset:2048
	;; [unrolled: 4-line block ×7, first 2 shown]
	s_endpgm
	.section	.rodata,"a",@progbits
	.p2align	6, 0x0
	.amdhsa_kernel _Z6kernelI27subtract_right_partial_tileLj256ELj16ELb1EJPxPiS1_jEEvDpT3_
		.amdhsa_group_segment_fixed_size 4096
		.amdhsa_private_segment_fixed_size 0
		.amdhsa_kernarg_size 28
		.amdhsa_user_sgpr_count 6
		.amdhsa_user_sgpr_private_segment_buffer 1
		.amdhsa_user_sgpr_dispatch_ptr 0
		.amdhsa_user_sgpr_queue_ptr 0
		.amdhsa_user_sgpr_kernarg_segment_ptr 1
		.amdhsa_user_sgpr_dispatch_id 0
		.amdhsa_user_sgpr_flat_scratch_init 0
		.amdhsa_user_sgpr_kernarg_preload_length 0
		.amdhsa_user_sgpr_kernarg_preload_offset 0
		.amdhsa_user_sgpr_private_segment_size 0
		.amdhsa_uses_dynamic_stack 0
		.amdhsa_system_sgpr_private_segment_wavefront_offset 0
		.amdhsa_system_sgpr_workgroup_id_x 1
		.amdhsa_system_sgpr_workgroup_id_y 0
		.amdhsa_system_sgpr_workgroup_id_z 0
		.amdhsa_system_sgpr_workgroup_info 0
		.amdhsa_system_vgpr_workitem_id 0
		.amdhsa_next_free_vgpr 57
		.amdhsa_next_free_sgpr 14
		.amdhsa_accum_offset 60
		.amdhsa_reserve_vcc 1
		.amdhsa_reserve_flat_scratch 0
		.amdhsa_float_round_mode_32 0
		.amdhsa_float_round_mode_16_64 0
		.amdhsa_float_denorm_mode_32 3
		.amdhsa_float_denorm_mode_16_64 3
		.amdhsa_dx10_clamp 1
		.amdhsa_ieee_mode 1
		.amdhsa_fp16_overflow 0
		.amdhsa_tg_split 0
		.amdhsa_exception_fp_ieee_invalid_op 0
		.amdhsa_exception_fp_denorm_src 0
		.amdhsa_exception_fp_ieee_div_zero 0
		.amdhsa_exception_fp_ieee_overflow 0
		.amdhsa_exception_fp_ieee_underflow 0
		.amdhsa_exception_fp_ieee_inexact 0
		.amdhsa_exception_int_div_zero 0
	.end_amdhsa_kernel
	.section	.text._Z6kernelI27subtract_right_partial_tileLj256ELj16ELb1EJPxPiS1_jEEvDpT3_,"axG",@progbits,_Z6kernelI27subtract_right_partial_tileLj256ELj16ELb1EJPxPiS1_jEEvDpT3_,comdat
.Lfunc_end232:
	.size	_Z6kernelI27subtract_right_partial_tileLj256ELj16ELb1EJPxPiS1_jEEvDpT3_, .Lfunc_end232-_Z6kernelI27subtract_right_partial_tileLj256ELj16ELb1EJPxPiS1_jEEvDpT3_
                                        ; -- End function
	.section	.AMDGPU.csdata,"",@progbits
; Kernel info:
; codeLenInByte = 1352
; NumSgprs: 18
; NumVgprs: 57
; NumAgprs: 0
; TotalNumVgprs: 57
; ScratchSize: 0
; MemoryBound: 0
; FloatMode: 240
; IeeeMode: 1
; LDSByteSize: 4096 bytes/workgroup (compile time only)
; SGPRBlocks: 2
; VGPRBlocks: 7
; NumSGPRsForWavesPerEU: 18
; NumVGPRsForWavesPerEU: 57
; AccumOffset: 60
; Occupancy: 8
; WaveLimiterHint : 1
; COMPUTE_PGM_RSRC2:SCRATCH_EN: 0
; COMPUTE_PGM_RSRC2:USER_SGPR: 6
; COMPUTE_PGM_RSRC2:TRAP_HANDLER: 0
; COMPUTE_PGM_RSRC2:TGID_X_EN: 1
; COMPUTE_PGM_RSRC2:TGID_Y_EN: 0
; COMPUTE_PGM_RSRC2:TGID_Z_EN: 0
; COMPUTE_PGM_RSRC2:TIDIG_COMP_CNT: 0
; COMPUTE_PGM_RSRC3_GFX90A:ACCUM_OFFSET: 14
; COMPUTE_PGM_RSRC3_GFX90A:TG_SPLIT: 0
	.section	.text._Z6kernelI27subtract_right_partial_tileLj256ELj32ELb1EJPxPiS1_jEEvDpT3_,"axG",@progbits,_Z6kernelI27subtract_right_partial_tileLj256ELj32ELb1EJPxPiS1_jEEvDpT3_,comdat
	.protected	_Z6kernelI27subtract_right_partial_tileLj256ELj32ELb1EJPxPiS1_jEEvDpT3_ ; -- Begin function _Z6kernelI27subtract_right_partial_tileLj256ELj32ELb1EJPxPiS1_jEEvDpT3_
	.globl	_Z6kernelI27subtract_right_partial_tileLj256ELj32ELb1EJPxPiS1_jEEvDpT3_
	.p2align	8
	.type	_Z6kernelI27subtract_right_partial_tileLj256ELj32ELb1EJPxPiS1_jEEvDpT3_,@function
_Z6kernelI27subtract_right_partial_tileLj256ELj32ELb1EJPxPiS1_jEEvDpT3_: ; @_Z6kernelI27subtract_right_partial_tileLj256ELj32ELb1EJPxPiS1_jEEvDpT3_
; %bb.0:
	s_load_dwordx4 s[0:3], s[4:5], 0x0
	s_load_dwordx2 s[8:9], s[4:5], 0x10
	s_lshl_b32 s12, s6, 13
	s_mov_b32 s13, 0
	s_lshl_b64 s[10:11], s[12:13], 3
	s_waitcnt lgkmcnt(0)
	s_add_u32 s0, s0, s10
	s_addc_u32 s1, s1, s11
	v_lshlrev_b32_e32 v1, 3, v0
	v_mov_b32_e32 v2, s1
	v_add_co_u32_e32 v46, vcc, s0, v1
	v_addc_co_u32_e32 v47, vcc, 0, v2, vcc
	s_movk_i32 s7, 0x1000
	v_add_co_u32_e32 v30, vcc, s7, v46
	v_addc_co_u32_e32 v31, vcc, 0, v47, vcc
	s_movk_i32 s7, 0x2000
	;; [unrolled: 3-line block ×7, first 2 shown]
	v_add_co_u32_e32 v42, vcc, s7, v46
	v_addc_co_u32_e32 v43, vcc, 0, v47, vcc
	s_mov_b32 s7, 0x8000
	v_add_co_u32_e32 v44, vcc, s7, v46
	v_addc_co_u32_e32 v45, vcc, 0, v47, vcc
	s_mov_b32 s7, 0x9000
	;; [unrolled: 3-line block ×3, first 2 shown]
	global_load_dwordx2 v[22:23], v[2:3], off offset:-4096
	global_load_dwordx2 v[10:11], v[2:3], off
	global_load_dwordx2 v[8:9], v[2:3], off offset:2048
	global_load_dwordx2 v[4:5], v[12:13], off offset:-4096
	global_load_dwordx2 v[18:19], v[12:13], off
	global_load_dwordx2 v[16:17], v[12:13], off offset:2048
	global_load_dwordx2 v[6:7], v[36:37], off offset:-4096
	s_nop 0
	global_load_dwordx2 v[2:3], v[36:37], off
	global_load_dwordx2 v[40:41], v[30:31], off offset:2048
	global_load_dwordx2 v[38:39], v[32:33], off offset:2048
	;; [unrolled: 1-line block ×5, first 2 shown]
	global_load_dwordx2 v[24:25], v[44:45], off offset:-4096
	global_load_dwordx2 v[14:15], v[44:45], off
	global_load_dwordx2 v[12:13], v[44:45], off offset:2048
	v_add_co_u32_e32 v42, vcc, s7, v46
	v_addc_co_u32_e32 v43, vcc, 0, v47, vcc
	s_mov_b32 s7, 0xb000
	v_add_co_u32_e32 v68, vcc, s7, v46
	v_addc_co_u32_e32 v69, vcc, 0, v47, vcc
	s_mov_b32 s7, 0xc000
	;; [unrolled: 3-line block ×5, first 2 shown]
	v_add_co_u32_e32 v76, vcc, s7, v46
	global_load_dwordx2 v[36:37], v[42:43], off offset:-4096
	global_load_dwordx2 v[34:35], v[42:43], off
	global_load_dwordx2 v[32:33], v[42:43], off offset:2048
	global_load_dwordx2 v[30:31], v[70:71], off offset:-4096
	v_addc_co_u32_e32 v77, vcc, 0, v47, vcc
	global_load_dwordx2 v[56:57], v[70:71], off
	global_load_dwordx2 v[54:55], v[70:71], off offset:2048
	global_load_dwordx2 v[50:51], v[74:75], off offset:-4096
	global_load_dwordx2 v[48:49], v[74:75], off
	global_load_dwordx2 v[46:47], v[74:75], off offset:2048
	global_load_dwordx2 v[60:61], v[66:67], off offset:2048
	;; [unrolled: 1-line block ×4, first 2 shown]
	global_load_dwordx2 v[44:45], v[76:77], off
	global_load_dwordx2 v[42:43], v[76:77], off offset:2048
	global_load_dwordx2 v[64:65], v1, s[0:1]
	global_load_dwordx2 v[62:63], v1, s[0:1] offset:2048
	s_load_dword s4, s[4:5], 0x18
	s_mov_b32 s7, s13
	s_lshl_b64 s[0:1], s[6:7], 2
	s_add_u32 s0, s2, s0
	s_addc_u32 s1, s3, s1
	s_waitcnt lgkmcnt(0)
	v_cvt_f32_u32_e32 v66, s4
	s_load_dword s2, s[0:1], 0x0
	s_sub_i32 s0, 0, s4
	v_or_b32_e32 v100, 0x800, v1
	v_rcp_iflag_f32_e32 v66, v66
	v_mul_f32_e32 v66, 0x4f7ffffe, v66
	v_cvt_u32_f32_e32 v66, v66
	v_readfirstlane_b32 s5, v66
	s_mul_i32 s0, s0, s5
	s_mul_hi_u32 s0, s5, s0
	s_add_i32 s5, s5, s0
	s_lshr_b32 s0, s5, 19
	s_mul_i32 s1, s0, s4
	s_sub_i32 s1, 0x2000, s1
	s_add_i32 s3, s0, 1
	s_sub_i32 s5, s1, s4
	s_cmp_ge_u32 s1, s4
	s_cselect_b32 s0, s3, s0
	s_cselect_b32 s1, s5, s1
	s_add_i32 s3, s0, 1
	s_cmp_ge_u32 s1, s4
	s_cselect_b32 s3, s3, s0
	v_lshlrev_b32_e32 v66, 5, v0
	s_add_i32 s3, s3, 1
	v_or_b32_e32 v68, 1, v66
	v_or_b32_e32 v69, 2, v66
	v_or_b32_e32 v70, 3, v66
	v_or_b32_e32 v71, 4, v66
	v_or_b32_e32 v72, 5, v66
	v_or_b32_e32 v73, 6, v66
	v_or_b32_e32 v74, 7, v66
	v_or_b32_e32 v75, 8, v66
	v_or_b32_e32 v76, 9, v66
	v_or_b32_e32 v77, 10, v66
	v_or_b32_e32 v78, 11, v66
	v_or_b32_e32 v79, 12, v66
	v_or_b32_e32 v80, 13, v66
	v_or_b32_e32 v81, 14, v66
	v_or_b32_e32 v82, 15, v66
	v_or_b32_e32 v83, 16, v66
	v_or_b32_e32 v84, 17, v66
	v_or_b32_e32 v85, 18, v66
	v_or_b32_e32 v86, 19, v66
	v_or_b32_e32 v87, 20, v66
	v_or_b32_e32 v88, 21, v66
	v_or_b32_e32 v89, 22, v66
	v_or_b32_e32 v90, 23, v66
	v_or_b32_e32 v91, 24, v66
	v_or_b32_e32 v92, 25, v66
	v_or_b32_e32 v93, 26, v66
	v_or_b32_e32 v94, 27, v66
	v_or_b32_e32 v95, 28, v66
	v_or_b32_e32 v96, 29, v66
	v_or_b32_e32 v97, 30, v66
	v_or_b32_e32 v98, 31, v66
	v_add_u32_e32 v99, 32, v66
	s_max_u32 s4, s4, 1
	s_branch .LBB233_2
.LBB233_1:                              ;   in Loop: Header=BB233_2 Depth=1
	s_or_b64 exec, exec, s[0:1]
	v_cmp_gt_u32_e32 vcc, s2, v68
	s_waitcnt vmcnt(0)
	v_cndmask_b32_e32 v102, 0, v62, vcc
	v_cndmask_b32_e32 v101, 0, v63, vcc
	v_sub_co_u32_e32 v102, vcc, v64, v102
	v_subb_co_u32_e32 v101, vcc, v65, v101, vcc
	v_cmp_gt_u32_e32 vcc, s2, v69
	v_cndmask_b32_e32 v104, 0, v22, vcc
	v_cndmask_b32_e32 v103, 0, v23, vcc
	v_sub_co_u32_e32 v104, vcc, v62, v104
	v_subb_co_u32_e32 v103, vcc, v63, v103, vcc
	v_cmp_gt_u32_e32 vcc, s2, v70
	;; [unrolled: 5-line block ×10, first 2 shown]
	v_add_co_u32_e64 v64, s[0:1], v102, v64
	v_addc_co_u32_e64 v65, s[0:1], v101, v65, s[0:1]
	v_cndmask_b32_e32 v101, 0, v28, vcc
	v_cndmask_b32_e32 v121, 0, v29, vcc
	v_sub_co_u32_e32 v101, vcc, v6, v101
	v_subb_co_u32_e32 v102, vcc, v7, v121, vcc
	v_cmp_gt_u32_e32 vcc, s2, v79
	v_add_co_u32_e64 v62, s[0:1], v104, v62
	v_addc_co_u32_e64 v63, s[0:1], v103, v63, s[0:1]
	v_cndmask_b32_e32 v103, 0, v2, vcc
	v_cndmask_b32_e32 v121, 0, v3, vcc
	v_sub_co_u32_e32 v103, vcc, v28, v103
	v_subb_co_u32_e32 v104, vcc, v29, v121, vcc
	v_cmp_gt_u32_e32 vcc, s2, v80
	;; [unrolled: 7-line block ×10, first 2 shown]
	v_add_co_u32_e64 v6, s[0:1], v101, v6
	v_cndmask_b32_e32 v101, 0, v32, vcc
	v_cndmask_b32_e32 v121, 0, v33, vcc
	v_sub_co_u32_e32 v101, vcc, v34, v101
	v_addc_co_u32_e64 v7, s[0:1], v102, v7, s[0:1]
	v_subb_co_u32_e32 v102, vcc, v35, v121, vcc
	v_cmp_gt_u32_e32 vcc, s2, v89
	v_add_co_u32_e64 v28, s[0:1], v103, v28
	v_cndmask_b32_e32 v103, 0, v30, vcc
	v_cndmask_b32_e32 v121, 0, v31, vcc
	v_sub_co_u32_e32 v103, vcc, v32, v103
	v_addc_co_u32_e64 v29, s[0:1], v104, v29, s[0:1]
	v_subb_co_u32_e32 v104, vcc, v33, v121, vcc
	v_cmp_gt_u32_e32 vcc, s2, v90
	;; [unrolled: 7-line block ×10, first 2 shown]
	v_add_co_u32_e64 v34, s[0:1], v101, v34
	v_cndmask_b32_e32 v101, 0, v42, vcc
	v_cndmask_b32_e32 v121, 0, v43, vcc
	v_sub_co_u32_e32 v101, vcc, v44, v101
	v_addc_co_u32_e64 v35, s[0:1], v102, v35, s[0:1]
	v_subb_co_u32_e32 v102, vcc, v45, v121, vcc
	v_add_co_u32_e32 v32, vcc, v103, v32
	v_addc_co_u32_e32 v33, vcc, v104, v33, vcc
	v_add_co_u32_e32 v30, vcc, v105, v30
	v_addc_co_u32_e32 v31, vcc, v106, v31, vcc
	;; [unrolled: 2-line block ×10, first 2 shown]
	s_add_i32 s0, s3, s2
	v_add_co_u32_e32 v42, vcc, v66, v42
	s_and_b32 s2, s0, 0x1fff
	s_add_i32 s4, s4, -1
	v_addc_co_u32_e32 v43, vcc, v67, v43, vcc
	s_cmp_lg_u32 s4, 0
	s_barrier
	s_cbranch_scc0 .LBB233_4
.LBB233_2:                              ; =>This Inner Loop Header: Depth=1
	s_waitcnt lgkmcnt(0)
	v_cmp_gt_u32_e32 vcc, s2, v99
	s_waitcnt vmcnt(2)
	v_pk_mov_b32 v[66:67], v[42:43], v[42:43] op_sel:[0,1]
	s_waitcnt vmcnt(1)
	ds_write_b64 v1, v[64:65] offset:2048
	s_waitcnt lgkmcnt(0)
	s_barrier
	s_and_saveexec_b64 s[0:1], vcc
	s_cbranch_execz .LBB233_1
; %bb.3:                                ;   in Loop: Header=BB233_2 Depth=1
	ds_read_b64 v[66:67], v100 offset:8
	s_waitcnt lgkmcnt(0)
	v_sub_co_u32_e32 v66, vcc, v42, v66
	v_subb_co_u32_e32 v67, vcc, v43, v67, vcc
	s_branch .LBB233_1
.LBB233_4:
	s_add_u32 s0, s8, s10
	s_addc_u32 s1, s9, s11
	v_lshlrev_b32_e32 v0, 3, v0
	v_mov_b32_e32 v1, s1
	v_add_co_u32_e32 v66, vcc, s0, v0
	v_addc_co_u32_e32 v67, vcc, 0, v1, vcc
	global_store_dwordx2 v0, v[64:65], s[0:1]
	global_store_dwordx2 v0, v[62:63], s[0:1] offset:2048
	v_add_co_u32_e32 v0, vcc, 0x1000, v66
	v_addc_co_u32_e32 v1, vcc, 0, v67, vcc
	global_store_dwordx2 v[0:1], v[22:23], off
	global_store_dwordx2 v[0:1], v[40:41], off offset:2048
	v_add_co_u32_e32 v0, vcc, 0x2000, v66
	v_addc_co_u32_e32 v1, vcc, 0, v67, vcc
	global_store_dwordx2 v[0:1], v[10:11], off
	global_store_dwordx2 v[0:1], v[8:9], off offset:2048
	;; [unrolled: 4-line block ×15, first 2 shown]
	s_endpgm
	.section	.rodata,"a",@progbits
	.p2align	6, 0x0
	.amdhsa_kernel _Z6kernelI27subtract_right_partial_tileLj256ELj32ELb1EJPxPiS1_jEEvDpT3_
		.amdhsa_group_segment_fixed_size 4096
		.amdhsa_private_segment_fixed_size 0
		.amdhsa_kernarg_size 28
		.amdhsa_user_sgpr_count 6
		.amdhsa_user_sgpr_private_segment_buffer 1
		.amdhsa_user_sgpr_dispatch_ptr 0
		.amdhsa_user_sgpr_queue_ptr 0
		.amdhsa_user_sgpr_kernarg_segment_ptr 1
		.amdhsa_user_sgpr_dispatch_id 0
		.amdhsa_user_sgpr_flat_scratch_init 0
		.amdhsa_user_sgpr_kernarg_preload_length 0
		.amdhsa_user_sgpr_kernarg_preload_offset 0
		.amdhsa_user_sgpr_private_segment_size 0
		.amdhsa_uses_dynamic_stack 0
		.amdhsa_system_sgpr_private_segment_wavefront_offset 0
		.amdhsa_system_sgpr_workgroup_id_x 1
		.amdhsa_system_sgpr_workgroup_id_y 0
		.amdhsa_system_sgpr_workgroup_id_z 0
		.amdhsa_system_sgpr_workgroup_info 0
		.amdhsa_system_vgpr_workitem_id 0
		.amdhsa_next_free_vgpr 122
		.amdhsa_next_free_sgpr 14
		.amdhsa_accum_offset 124
		.amdhsa_reserve_vcc 1
		.amdhsa_reserve_flat_scratch 0
		.amdhsa_float_round_mode_32 0
		.amdhsa_float_round_mode_16_64 0
		.amdhsa_float_denorm_mode_32 3
		.amdhsa_float_denorm_mode_16_64 3
		.amdhsa_dx10_clamp 1
		.amdhsa_ieee_mode 1
		.amdhsa_fp16_overflow 0
		.amdhsa_tg_split 0
		.amdhsa_exception_fp_ieee_invalid_op 0
		.amdhsa_exception_fp_denorm_src 0
		.amdhsa_exception_fp_ieee_div_zero 0
		.amdhsa_exception_fp_ieee_overflow 0
		.amdhsa_exception_fp_ieee_underflow 0
		.amdhsa_exception_fp_ieee_inexact 0
		.amdhsa_exception_int_div_zero 0
	.end_amdhsa_kernel
	.section	.text._Z6kernelI27subtract_right_partial_tileLj256ELj32ELb1EJPxPiS1_jEEvDpT3_,"axG",@progbits,_Z6kernelI27subtract_right_partial_tileLj256ELj32ELb1EJPxPiS1_jEEvDpT3_,comdat
.Lfunc_end233:
	.size	_Z6kernelI27subtract_right_partial_tileLj256ELj32ELb1EJPxPiS1_jEEvDpT3_, .Lfunc_end233-_Z6kernelI27subtract_right_partial_tileLj256ELj32ELb1EJPxPiS1_jEEvDpT3_
                                        ; -- End function
	.section	.AMDGPU.csdata,"",@progbits
; Kernel info:
; codeLenInByte = 2420
; NumSgprs: 18
; NumVgprs: 122
; NumAgprs: 0
; TotalNumVgprs: 122
; ScratchSize: 0
; MemoryBound: 0
; FloatMode: 240
; IeeeMode: 1
; LDSByteSize: 4096 bytes/workgroup (compile time only)
; SGPRBlocks: 2
; VGPRBlocks: 15
; NumSGPRsForWavesPerEU: 18
; NumVGPRsForWavesPerEU: 122
; AccumOffset: 124
; Occupancy: 4
; WaveLimiterHint : 1
; COMPUTE_PGM_RSRC2:SCRATCH_EN: 0
; COMPUTE_PGM_RSRC2:USER_SGPR: 6
; COMPUTE_PGM_RSRC2:TRAP_HANDLER: 0
; COMPUTE_PGM_RSRC2:TGID_X_EN: 1
; COMPUTE_PGM_RSRC2:TGID_Y_EN: 0
; COMPUTE_PGM_RSRC2:TGID_Z_EN: 0
; COMPUTE_PGM_RSRC2:TIDIG_COMP_CNT: 0
; COMPUTE_PGM_RSRC3_GFX90A:ACCUM_OFFSET: 30
; COMPUTE_PGM_RSRC3_GFX90A:TG_SPLIT: 0
	.section	.text._Z6kernelI27subtract_right_partial_tileLj256ELj1ELb1EJPdPiS1_jEEvDpT3_,"axG",@progbits,_Z6kernelI27subtract_right_partial_tileLj256ELj1ELb1EJPdPiS1_jEEvDpT3_,comdat
	.protected	_Z6kernelI27subtract_right_partial_tileLj256ELj1ELb1EJPdPiS1_jEEvDpT3_ ; -- Begin function _Z6kernelI27subtract_right_partial_tileLj256ELj1ELb1EJPdPiS1_jEEvDpT3_
	.globl	_Z6kernelI27subtract_right_partial_tileLj256ELj1ELb1EJPdPiS1_jEEvDpT3_
	.p2align	8
	.type	_Z6kernelI27subtract_right_partial_tileLj256ELj1ELb1EJPdPiS1_jEEvDpT3_,@function
_Z6kernelI27subtract_right_partial_tileLj256ELj1ELb1EJPdPiS1_jEEvDpT3_: ; @_Z6kernelI27subtract_right_partial_tileLj256ELj1ELb1EJPdPiS1_jEEvDpT3_
; %bb.0:
	s_load_dwordx4 s[8:11], s[4:5], 0x0
	s_load_dwordx2 s[0:1], s[4:5], 0x10
	s_lshl_b32 s12, s6, 8
	s_mov_b32 s13, 0
	s_lshl_b64 s[2:3], s[12:13], 3
	s_waitcnt lgkmcnt(0)
	s_add_u32 s8, s8, s2
	s_addc_u32 s9, s9, s3
	v_lshlrev_b32_e32 v1, 3, v0
	global_load_dwordx2 v[2:3], v1, s[8:9]
	s_load_dword s8, s[4:5], 0x18
	s_mov_b32 s7, s13
	s_lshl_b64 s[4:5], s[6:7], 2
	s_add_u32 s4, s10, s4
	s_addc_u32 s5, s11, s5
	s_waitcnt lgkmcnt(0)
	v_cvt_f32_u32_e32 v4, s8
	s_load_dword s6, s[4:5], 0x0
	s_sub_i32 s4, 0, s8
	v_add_u32_e32 v6, 1, v0
	v_rcp_iflag_f32_e32 v4, v4
	v_or_b32_e32 v7, 0x800, v1
	v_mul_f32_e32 v4, 0x4f7ffffe, v4
	v_cvt_u32_f32_e32 v4, v4
	v_readfirstlane_b32 s5, v4
	s_mul_i32 s4, s4, s5
	s_mul_hi_u32 s4, s5, s4
	s_add_i32 s5, s5, s4
	s_lshr_b32 s4, s5, 24
	s_mul_i32 s5, s4, s8
	s_sub_i32 s5, 0x100, s5
	s_add_i32 s7, s4, 1
	s_sub_i32 s9, s5, s8
	s_cmp_ge_u32 s5, s8
	s_cselect_b32 s4, s7, s4
	s_cselect_b32 s5, s9, s5
	s_add_i32 s7, s4, 1
	s_cmp_ge_u32 s5, s8
	s_cselect_b32 s7, s7, s4
	s_add_i32 s7, s7, 1
	s_max_u32 s8, s8, 1
	s_branch .LBB234_2
.LBB234_1:                              ;   in Loop: Header=BB234_2 Depth=1
	s_or_b64 exec, exec, s[4:5]
	s_add_i32 s4, s7, s6
	s_and_b32 s6, s4, 0xff
	s_add_i32 s8, s8, -1
	v_add_f64 v[2:3], v[2:3], v[4:5]
	s_cmp_lg_u32 s8, 0
	s_barrier
	s_cbranch_scc0 .LBB234_4
.LBB234_2:                              ; =>This Inner Loop Header: Depth=1
	s_waitcnt lgkmcnt(0)
	v_cmp_gt_u32_e32 vcc, s6, v6
	s_waitcnt vmcnt(0)
	v_pk_mov_b32 v[4:5], v[2:3], v[2:3] op_sel:[0,1]
	ds_write_b64 v1, v[2:3] offset:2048
	s_waitcnt lgkmcnt(0)
	s_barrier
	s_and_saveexec_b64 s[4:5], vcc
	s_cbranch_execz .LBB234_1
; %bb.3:                                ;   in Loop: Header=BB234_2 Depth=1
	ds_read_b64 v[4:5], v7 offset:8
	s_waitcnt lgkmcnt(0)
	v_add_f64 v[4:5], v[2:3], -v[4:5]
	s_branch .LBB234_1
.LBB234_4:
	s_add_u32 s0, s0, s2
	s_addc_u32 s1, s1, s3
	v_lshlrev_b32_e32 v0, 3, v0
	global_store_dwordx2 v0, v[2:3], s[0:1]
	s_endpgm
	.section	.rodata,"a",@progbits
	.p2align	6, 0x0
	.amdhsa_kernel _Z6kernelI27subtract_right_partial_tileLj256ELj1ELb1EJPdPiS1_jEEvDpT3_
		.amdhsa_group_segment_fixed_size 4096
		.amdhsa_private_segment_fixed_size 0
		.amdhsa_kernarg_size 28
		.amdhsa_user_sgpr_count 6
		.amdhsa_user_sgpr_private_segment_buffer 1
		.amdhsa_user_sgpr_dispatch_ptr 0
		.amdhsa_user_sgpr_queue_ptr 0
		.amdhsa_user_sgpr_kernarg_segment_ptr 1
		.amdhsa_user_sgpr_dispatch_id 0
		.amdhsa_user_sgpr_flat_scratch_init 0
		.amdhsa_user_sgpr_kernarg_preload_length 0
		.amdhsa_user_sgpr_kernarg_preload_offset 0
		.amdhsa_user_sgpr_private_segment_size 0
		.amdhsa_uses_dynamic_stack 0
		.amdhsa_system_sgpr_private_segment_wavefront_offset 0
		.amdhsa_system_sgpr_workgroup_id_x 1
		.amdhsa_system_sgpr_workgroup_id_y 0
		.amdhsa_system_sgpr_workgroup_id_z 0
		.amdhsa_system_sgpr_workgroup_info 0
		.amdhsa_system_vgpr_workitem_id 0
		.amdhsa_next_free_vgpr 8
		.amdhsa_next_free_sgpr 14
		.amdhsa_accum_offset 8
		.amdhsa_reserve_vcc 1
		.amdhsa_reserve_flat_scratch 0
		.amdhsa_float_round_mode_32 0
		.amdhsa_float_round_mode_16_64 0
		.amdhsa_float_denorm_mode_32 3
		.amdhsa_float_denorm_mode_16_64 3
		.amdhsa_dx10_clamp 1
		.amdhsa_ieee_mode 1
		.amdhsa_fp16_overflow 0
		.amdhsa_tg_split 0
		.amdhsa_exception_fp_ieee_invalid_op 0
		.amdhsa_exception_fp_denorm_src 0
		.amdhsa_exception_fp_ieee_div_zero 0
		.amdhsa_exception_fp_ieee_overflow 0
		.amdhsa_exception_fp_ieee_underflow 0
		.amdhsa_exception_fp_ieee_inexact 0
		.amdhsa_exception_int_div_zero 0
	.end_amdhsa_kernel
	.section	.text._Z6kernelI27subtract_right_partial_tileLj256ELj1ELb1EJPdPiS1_jEEvDpT3_,"axG",@progbits,_Z6kernelI27subtract_right_partial_tileLj256ELj1ELb1EJPdPiS1_jEEvDpT3_,comdat
.Lfunc_end234:
	.size	_Z6kernelI27subtract_right_partial_tileLj256ELj1ELb1EJPdPiS1_jEEvDpT3_, .Lfunc_end234-_Z6kernelI27subtract_right_partial_tileLj256ELj1ELb1EJPdPiS1_jEEvDpT3_
                                        ; -- End function
	.section	.AMDGPU.csdata,"",@progbits
; Kernel info:
; codeLenInByte = 332
; NumSgprs: 18
; NumVgprs: 8
; NumAgprs: 0
; TotalNumVgprs: 8
; ScratchSize: 0
; MemoryBound: 0
; FloatMode: 240
; IeeeMode: 1
; LDSByteSize: 4096 bytes/workgroup (compile time only)
; SGPRBlocks: 2
; VGPRBlocks: 0
; NumSGPRsForWavesPerEU: 18
; NumVGPRsForWavesPerEU: 8
; AccumOffset: 8
; Occupancy: 8
; WaveLimiterHint : 0
; COMPUTE_PGM_RSRC2:SCRATCH_EN: 0
; COMPUTE_PGM_RSRC2:USER_SGPR: 6
; COMPUTE_PGM_RSRC2:TRAP_HANDLER: 0
; COMPUTE_PGM_RSRC2:TGID_X_EN: 1
; COMPUTE_PGM_RSRC2:TGID_Y_EN: 0
; COMPUTE_PGM_RSRC2:TGID_Z_EN: 0
; COMPUTE_PGM_RSRC2:TIDIG_COMP_CNT: 0
; COMPUTE_PGM_RSRC3_GFX90A:ACCUM_OFFSET: 1
; COMPUTE_PGM_RSRC3_GFX90A:TG_SPLIT: 0
	.section	.text._Z6kernelI27subtract_right_partial_tileLj256ELj3ELb1EJPdPiS1_jEEvDpT3_,"axG",@progbits,_Z6kernelI27subtract_right_partial_tileLj256ELj3ELb1EJPdPiS1_jEEvDpT3_,comdat
	.protected	_Z6kernelI27subtract_right_partial_tileLj256ELj3ELb1EJPdPiS1_jEEvDpT3_ ; -- Begin function _Z6kernelI27subtract_right_partial_tileLj256ELj3ELb1EJPdPiS1_jEEvDpT3_
	.globl	_Z6kernelI27subtract_right_partial_tileLj256ELj3ELb1EJPdPiS1_jEEvDpT3_
	.p2align	8
	.type	_Z6kernelI27subtract_right_partial_tileLj256ELj3ELb1EJPdPiS1_jEEvDpT3_,@function
_Z6kernelI27subtract_right_partial_tileLj256ELj3ELb1EJPdPiS1_jEEvDpT3_: ; @_Z6kernelI27subtract_right_partial_tileLj256ELj3ELb1EJPdPiS1_jEEvDpT3_
; %bb.0:
	s_load_dwordx4 s[0:3], s[4:5], 0x0
	s_load_dwordx2 s[8:9], s[4:5], 0x10
	s_mul_i32 s12, s6, 0x300
	s_mov_b32 s13, 0
	s_lshl_b64 s[10:11], s[12:13], 3
	s_waitcnt lgkmcnt(0)
	s_add_u32 s0, s0, s10
	s_addc_u32 s1, s1, s11
	v_lshlrev_b32_e32 v1, 3, v0
	v_mov_b32_e32 v2, s1
	v_add_co_u32_e32 v6, vcc, s0, v1
	v_addc_co_u32_e32 v7, vcc, 0, v2, vcc
	global_load_dwordx2 v[2:3], v1, s[0:1]
	global_load_dwordx2 v[4:5], v1, s[0:1] offset:2048
	s_movk_i32 s0, 0x1000
	v_add_co_u32_e32 v6, vcc, s0, v6
	v_addc_co_u32_e32 v7, vcc, 0, v7, vcc
	global_load_dwordx2 v[6:7], v[6:7], off
	s_load_dword s4, s[4:5], 0x18
	s_mov_b32 s7, s13
	s_lshl_b64 s[0:1], s[6:7], 2
	s_add_u32 s0, s2, s0
	s_addc_u32 s1, s3, s1
	s_waitcnt lgkmcnt(0)
	v_cvt_f32_u32_e32 v8, s4
	s_load_dword s2, s[0:1], 0x0
	s_sub_i32 s0, 0, s4
	v_mad_u32_u24 v10, v0, 3, 1
	v_rcp_iflag_f32_e32 v8, v8
	v_mad_u32_u24 v11, v0, 3, 2
	v_mad_u32_u24 v12, v0, 3, 3
	v_or_b32_e32 v13, 0x800, v1
	v_mul_f32_e32 v8, 0x4f7ffffe, v8
	v_cvt_u32_f32_e32 v8, v8
	v_readfirstlane_b32 s1, v8
	s_mul_i32 s0, s0, s1
	s_mul_hi_u32 s0, s1, s0
	s_add_i32 s1, s1, s0
	s_mul_hi_u32 s0, s1, 0x300
	s_mul_i32 s1, s0, s4
	s_sub_i32 s1, 0x300, s1
	s_add_i32 s3, s0, 1
	s_sub_i32 s5, s1, s4
	s_cmp_ge_u32 s1, s4
	s_cselect_b32 s0, s3, s0
	s_cselect_b32 s1, s5, s1
	s_add_i32 s3, s0, 1
	s_cmp_ge_u32 s1, s4
	s_cselect_b32 s3, s3, s0
	s_add_i32 s3, s3, 1
	s_max_u32 s4, s4, 1
	s_branch .LBB235_2
.LBB235_1:                              ;   in Loop: Header=BB235_2 Depth=1
	s_or_b64 exec, exec, s[0:1]
	s_add_i32 s0, s3, s2
	s_mul_hi_u32 s1, s0, 0xaaaaaaab
	v_add_f64 v[14:15], v[2:3], -v[4:5]
	v_cmp_gt_u32_e32 vcc, s2, v10
	s_lshr_b32 s1, s1, 9
	v_cndmask_b32_e32 v15, v3, v15, vcc
	v_cndmask_b32_e32 v14, v2, v14, vcc
	v_add_f64 v[16:17], v[4:5], -v[6:7]
	v_cmp_gt_u32_e32 vcc, s2, v11
	s_mulk_i32 s1, 0x300
	v_cndmask_b32_e32 v17, v5, v17, vcc
	v_cndmask_b32_e32 v16, v4, v16, vcc
	s_sub_i32 s2, s0, s1
	s_add_i32 s4, s4, -1
	v_add_f64 v[2:3], v[2:3], v[14:15]
	v_add_f64 v[4:5], v[4:5], v[16:17]
	;; [unrolled: 1-line block ×3, first 2 shown]
	s_cmp_lg_u32 s4, 0
	s_barrier
	s_cbranch_scc0 .LBB235_4
.LBB235_2:                              ; =>This Inner Loop Header: Depth=1
	s_waitcnt lgkmcnt(0)
	v_cmp_gt_u32_e32 vcc, s2, v12
	s_waitcnt vmcnt(0)
	v_pk_mov_b32 v[8:9], v[6:7], v[6:7] op_sel:[0,1]
	ds_write_b64 v1, v[2:3] offset:2048
	s_waitcnt lgkmcnt(0)
	s_barrier
	s_and_saveexec_b64 s[0:1], vcc
	s_cbranch_execz .LBB235_1
; %bb.3:                                ;   in Loop: Header=BB235_2 Depth=1
	ds_read_b64 v[8:9], v13 offset:8
	s_waitcnt lgkmcnt(0)
	v_add_f64 v[8:9], v[6:7], -v[8:9]
	s_branch .LBB235_1
.LBB235_4:
	s_add_u32 s0, s8, s10
	s_addc_u32 s1, s9, s11
	v_lshlrev_b32_e32 v0, 3, v0
	v_mov_b32_e32 v1, s1
	v_add_co_u32_e32 v8, vcc, s0, v0
	v_addc_co_u32_e32 v1, vcc, 0, v1, vcc
	global_store_dwordx2 v0, v[2:3], s[0:1]
	global_store_dwordx2 v0, v[4:5], s[0:1] offset:2048
	v_add_co_u32_e32 v0, vcc, 0x1000, v8
	v_addc_co_u32_e32 v1, vcc, 0, v1, vcc
	global_store_dwordx2 v[0:1], v[6:7], off
	s_endpgm
	.section	.rodata,"a",@progbits
	.p2align	6, 0x0
	.amdhsa_kernel _Z6kernelI27subtract_right_partial_tileLj256ELj3ELb1EJPdPiS1_jEEvDpT3_
		.amdhsa_group_segment_fixed_size 4096
		.amdhsa_private_segment_fixed_size 0
		.amdhsa_kernarg_size 28
		.amdhsa_user_sgpr_count 6
		.amdhsa_user_sgpr_private_segment_buffer 1
		.amdhsa_user_sgpr_dispatch_ptr 0
		.amdhsa_user_sgpr_queue_ptr 0
		.amdhsa_user_sgpr_kernarg_segment_ptr 1
		.amdhsa_user_sgpr_dispatch_id 0
		.amdhsa_user_sgpr_flat_scratch_init 0
		.amdhsa_user_sgpr_kernarg_preload_length 0
		.amdhsa_user_sgpr_kernarg_preload_offset 0
		.amdhsa_user_sgpr_private_segment_size 0
		.amdhsa_uses_dynamic_stack 0
		.amdhsa_system_sgpr_private_segment_wavefront_offset 0
		.amdhsa_system_sgpr_workgroup_id_x 1
		.amdhsa_system_sgpr_workgroup_id_y 0
		.amdhsa_system_sgpr_workgroup_id_z 0
		.amdhsa_system_sgpr_workgroup_info 0
		.amdhsa_system_vgpr_workitem_id 0
		.amdhsa_next_free_vgpr 18
		.amdhsa_next_free_sgpr 14
		.amdhsa_accum_offset 20
		.amdhsa_reserve_vcc 1
		.amdhsa_reserve_flat_scratch 0
		.amdhsa_float_round_mode_32 0
		.amdhsa_float_round_mode_16_64 0
		.amdhsa_float_denorm_mode_32 3
		.amdhsa_float_denorm_mode_16_64 3
		.amdhsa_dx10_clamp 1
		.amdhsa_ieee_mode 1
		.amdhsa_fp16_overflow 0
		.amdhsa_tg_split 0
		.amdhsa_exception_fp_ieee_invalid_op 0
		.amdhsa_exception_fp_denorm_src 0
		.amdhsa_exception_fp_ieee_div_zero 0
		.amdhsa_exception_fp_ieee_overflow 0
		.amdhsa_exception_fp_ieee_underflow 0
		.amdhsa_exception_fp_ieee_inexact 0
		.amdhsa_exception_int_div_zero 0
	.end_amdhsa_kernel
	.section	.text._Z6kernelI27subtract_right_partial_tileLj256ELj3ELb1EJPdPiS1_jEEvDpT3_,"axG",@progbits,_Z6kernelI27subtract_right_partial_tileLj256ELj3ELb1EJPdPiS1_jEEvDpT3_,comdat
.Lfunc_end235:
	.size	_Z6kernelI27subtract_right_partial_tileLj256ELj3ELb1EJPdPiS1_jEEvDpT3_, .Lfunc_end235-_Z6kernelI27subtract_right_partial_tileLj256ELj3ELb1EJPdPiS1_jEEvDpT3_
                                        ; -- End function
	.section	.AMDGPU.csdata,"",@progbits
; Kernel info:
; codeLenInByte = 508
; NumSgprs: 18
; NumVgprs: 18
; NumAgprs: 0
; TotalNumVgprs: 18
; ScratchSize: 0
; MemoryBound: 0
; FloatMode: 240
; IeeeMode: 1
; LDSByteSize: 4096 bytes/workgroup (compile time only)
; SGPRBlocks: 2
; VGPRBlocks: 2
; NumSGPRsForWavesPerEU: 18
; NumVGPRsForWavesPerEU: 18
; AccumOffset: 20
; Occupancy: 8
; WaveLimiterHint : 1
; COMPUTE_PGM_RSRC2:SCRATCH_EN: 0
; COMPUTE_PGM_RSRC2:USER_SGPR: 6
; COMPUTE_PGM_RSRC2:TRAP_HANDLER: 0
; COMPUTE_PGM_RSRC2:TGID_X_EN: 1
; COMPUTE_PGM_RSRC2:TGID_Y_EN: 0
; COMPUTE_PGM_RSRC2:TGID_Z_EN: 0
; COMPUTE_PGM_RSRC2:TIDIG_COMP_CNT: 0
; COMPUTE_PGM_RSRC3_GFX90A:ACCUM_OFFSET: 4
; COMPUTE_PGM_RSRC3_GFX90A:TG_SPLIT: 0
	.section	.text._Z6kernelI27subtract_right_partial_tileLj256ELj4ELb1EJPdPiS1_jEEvDpT3_,"axG",@progbits,_Z6kernelI27subtract_right_partial_tileLj256ELj4ELb1EJPdPiS1_jEEvDpT3_,comdat
	.protected	_Z6kernelI27subtract_right_partial_tileLj256ELj4ELb1EJPdPiS1_jEEvDpT3_ ; -- Begin function _Z6kernelI27subtract_right_partial_tileLj256ELj4ELb1EJPdPiS1_jEEvDpT3_
	.globl	_Z6kernelI27subtract_right_partial_tileLj256ELj4ELb1EJPdPiS1_jEEvDpT3_
	.p2align	8
	.type	_Z6kernelI27subtract_right_partial_tileLj256ELj4ELb1EJPdPiS1_jEEvDpT3_,@function
_Z6kernelI27subtract_right_partial_tileLj256ELj4ELb1EJPdPiS1_jEEvDpT3_: ; @_Z6kernelI27subtract_right_partial_tileLj256ELj4ELb1EJPdPiS1_jEEvDpT3_
; %bb.0:
	s_load_dwordx4 s[0:3], s[4:5], 0x0
	s_load_dwordx2 s[8:9], s[4:5], 0x10
	s_lshl_b32 s12, s6, 10
	s_mov_b32 s13, 0
	s_lshl_b64 s[10:11], s[12:13], 3
	s_waitcnt lgkmcnt(0)
	s_add_u32 s0, s0, s10
	s_addc_u32 s1, s1, s11
	v_lshlrev_b32_e32 v1, 3, v0
	v_mov_b32_e32 v2, s1
	v_add_co_u32_e32 v6, vcc, s0, v1
	v_addc_co_u32_e32 v7, vcc, 0, v2, vcc
	global_load_dwordx2 v[2:3], v1, s[0:1]
	global_load_dwordx2 v[4:5], v1, s[0:1] offset:2048
	s_movk_i32 s0, 0x1000
	v_add_co_u32_e32 v10, vcc, s0, v6
	v_addc_co_u32_e32 v11, vcc, 0, v7, vcc
	global_load_dwordx2 v[6:7], v[10:11], off
	global_load_dwordx2 v[8:9], v[10:11], off offset:2048
	s_load_dword s4, s[4:5], 0x18
	s_mov_b32 s7, s13
	s_lshl_b64 s[0:1], s[6:7], 2
	s_add_u32 s0, s2, s0
	s_addc_u32 s1, s3, s1
	s_waitcnt lgkmcnt(0)
	v_cvt_f32_u32_e32 v10, s4
	s_load_dword s2, s[0:1], 0x0
	s_sub_i32 s0, 0, s4
	v_or_b32_e32 v16, 0x800, v1
	v_rcp_iflag_f32_e32 v10, v10
	v_mul_f32_e32 v10, 0x4f7ffffe, v10
	v_cvt_u32_f32_e32 v10, v10
	v_readfirstlane_b32 s1, v10
	s_mul_i32 s0, s0, s1
	s_mul_hi_u32 s0, s1, s0
	s_add_i32 s1, s1, s0
	s_lshr_b32 s0, s1, 22
	s_mul_i32 s1, s0, s4
	s_sub_i32 s1, 0x400, s1
	s_add_i32 s3, s0, 1
	s_sub_i32 s5, s1, s4
	s_cmp_ge_u32 s1, s4
	s_cselect_b32 s0, s3, s0
	s_cselect_b32 s1, s5, s1
	s_add_i32 s3, s0, 1
	s_cmp_ge_u32 s1, s4
	s_cselect_b32 s3, s3, s0
	v_lshlrev_b32_e32 v10, 2, v0
	s_add_i32 s3, s3, 1
	v_or_b32_e32 v12, 1, v10
	v_or_b32_e32 v13, 2, v10
	;; [unrolled: 1-line block ×3, first 2 shown]
	v_add_u32_e32 v15, 4, v10
	s_max_u32 s4, s4, 1
	s_branch .LBB236_2
.LBB236_1:                              ;   in Loop: Header=BB236_2 Depth=1
	s_or_b64 exec, exec, s[0:1]
	v_add_f64 v[18:19], v[2:3], -v[4:5]
	v_cmp_gt_u32_e32 vcc, s2, v12
	v_cndmask_b32_e32 v19, v3, v19, vcc
	v_cndmask_b32_e32 v18, v2, v18, vcc
	v_add_f64 v[20:21], v[4:5], -v[6:7]
	v_cmp_gt_u32_e32 vcc, s2, v13
	v_cndmask_b32_e32 v21, v5, v21, vcc
	v_cndmask_b32_e32 v20, v4, v20, vcc
	v_add_f64 v[22:23], v[6:7], -v[8:9]
	v_cmp_gt_u32_e32 vcc, s2, v14
	s_add_i32 s0, s3, s2
	v_cndmask_b32_e32 v23, v7, v23, vcc
	v_cndmask_b32_e32 v22, v6, v22, vcc
	s_and_b32 s2, s0, 0x3ff
	s_add_i32 s4, s4, -1
	v_add_f64 v[2:3], v[2:3], v[18:19]
	v_add_f64 v[4:5], v[4:5], v[20:21]
	;; [unrolled: 1-line block ×4, first 2 shown]
	s_cmp_lg_u32 s4, 0
	s_barrier
	s_cbranch_scc0 .LBB236_4
.LBB236_2:                              ; =>This Inner Loop Header: Depth=1
	s_waitcnt lgkmcnt(0)
	v_cmp_gt_u32_e32 vcc, s2, v15
	s_waitcnt vmcnt(0)
	v_pk_mov_b32 v[10:11], v[8:9], v[8:9] op_sel:[0,1]
	ds_write_b64 v1, v[2:3] offset:2048
	s_waitcnt lgkmcnt(0)
	s_barrier
	s_and_saveexec_b64 s[0:1], vcc
	s_cbranch_execz .LBB236_1
; %bb.3:                                ;   in Loop: Header=BB236_2 Depth=1
	ds_read_b64 v[10:11], v16 offset:8
	s_waitcnt lgkmcnt(0)
	v_add_f64 v[10:11], v[8:9], -v[10:11]
	s_branch .LBB236_1
.LBB236_4:
	s_add_u32 s0, s8, s10
	s_addc_u32 s1, s9, s11
	v_lshlrev_b32_e32 v0, 3, v0
	v_mov_b32_e32 v1, s1
	v_add_co_u32_e32 v10, vcc, s0, v0
	v_addc_co_u32_e32 v1, vcc, 0, v1, vcc
	global_store_dwordx2 v0, v[2:3], s[0:1]
	global_store_dwordx2 v0, v[4:5], s[0:1] offset:2048
	v_add_co_u32_e32 v0, vcc, 0x1000, v10
	v_addc_co_u32_e32 v1, vcc, 0, v1, vcc
	global_store_dwordx2 v[0:1], v[6:7], off
	global_store_dwordx2 v[0:1], v[8:9], off offset:2048
	s_endpgm
	.section	.rodata,"a",@progbits
	.p2align	6, 0x0
	.amdhsa_kernel _Z6kernelI27subtract_right_partial_tileLj256ELj4ELb1EJPdPiS1_jEEvDpT3_
		.amdhsa_group_segment_fixed_size 4096
		.amdhsa_private_segment_fixed_size 0
		.amdhsa_kernarg_size 28
		.amdhsa_user_sgpr_count 6
		.amdhsa_user_sgpr_private_segment_buffer 1
		.amdhsa_user_sgpr_dispatch_ptr 0
		.amdhsa_user_sgpr_queue_ptr 0
		.amdhsa_user_sgpr_kernarg_segment_ptr 1
		.amdhsa_user_sgpr_dispatch_id 0
		.amdhsa_user_sgpr_flat_scratch_init 0
		.amdhsa_user_sgpr_kernarg_preload_length 0
		.amdhsa_user_sgpr_kernarg_preload_offset 0
		.amdhsa_user_sgpr_private_segment_size 0
		.amdhsa_uses_dynamic_stack 0
		.amdhsa_system_sgpr_private_segment_wavefront_offset 0
		.amdhsa_system_sgpr_workgroup_id_x 1
		.amdhsa_system_sgpr_workgroup_id_y 0
		.amdhsa_system_sgpr_workgroup_id_z 0
		.amdhsa_system_sgpr_workgroup_info 0
		.amdhsa_system_vgpr_workitem_id 0
		.amdhsa_next_free_vgpr 24
		.amdhsa_next_free_sgpr 14
		.amdhsa_accum_offset 24
		.amdhsa_reserve_vcc 1
		.amdhsa_reserve_flat_scratch 0
		.amdhsa_float_round_mode_32 0
		.amdhsa_float_round_mode_16_64 0
		.amdhsa_float_denorm_mode_32 3
		.amdhsa_float_denorm_mode_16_64 3
		.amdhsa_dx10_clamp 1
		.amdhsa_ieee_mode 1
		.amdhsa_fp16_overflow 0
		.amdhsa_tg_split 0
		.amdhsa_exception_fp_ieee_invalid_op 0
		.amdhsa_exception_fp_denorm_src 0
		.amdhsa_exception_fp_ieee_div_zero 0
		.amdhsa_exception_fp_ieee_overflow 0
		.amdhsa_exception_fp_ieee_underflow 0
		.amdhsa_exception_fp_ieee_inexact 0
		.amdhsa_exception_int_div_zero 0
	.end_amdhsa_kernel
	.section	.text._Z6kernelI27subtract_right_partial_tileLj256ELj4ELb1EJPdPiS1_jEEvDpT3_,"axG",@progbits,_Z6kernelI27subtract_right_partial_tileLj256ELj4ELb1EJPdPiS1_jEEvDpT3_,comdat
.Lfunc_end236:
	.size	_Z6kernelI27subtract_right_partial_tileLj256ELj4ELb1EJPdPiS1_jEEvDpT3_, .Lfunc_end236-_Z6kernelI27subtract_right_partial_tileLj256ELj4ELb1EJPdPiS1_jEEvDpT3_
                                        ; -- End function
	.section	.AMDGPU.csdata,"",@progbits
; Kernel info:
; codeLenInByte = 528
; NumSgprs: 18
; NumVgprs: 24
; NumAgprs: 0
; TotalNumVgprs: 24
; ScratchSize: 0
; MemoryBound: 0
; FloatMode: 240
; IeeeMode: 1
; LDSByteSize: 4096 bytes/workgroup (compile time only)
; SGPRBlocks: 2
; VGPRBlocks: 2
; NumSGPRsForWavesPerEU: 18
; NumVGPRsForWavesPerEU: 24
; AccumOffset: 24
; Occupancy: 8
; WaveLimiterHint : 1
; COMPUTE_PGM_RSRC2:SCRATCH_EN: 0
; COMPUTE_PGM_RSRC2:USER_SGPR: 6
; COMPUTE_PGM_RSRC2:TRAP_HANDLER: 0
; COMPUTE_PGM_RSRC2:TGID_X_EN: 1
; COMPUTE_PGM_RSRC2:TGID_Y_EN: 0
; COMPUTE_PGM_RSRC2:TGID_Z_EN: 0
; COMPUTE_PGM_RSRC2:TIDIG_COMP_CNT: 0
; COMPUTE_PGM_RSRC3_GFX90A:ACCUM_OFFSET: 5
; COMPUTE_PGM_RSRC3_GFX90A:TG_SPLIT: 0
	.section	.text._Z6kernelI27subtract_right_partial_tileLj256ELj8ELb1EJPdPiS1_jEEvDpT3_,"axG",@progbits,_Z6kernelI27subtract_right_partial_tileLj256ELj8ELb1EJPdPiS1_jEEvDpT3_,comdat
	.protected	_Z6kernelI27subtract_right_partial_tileLj256ELj8ELb1EJPdPiS1_jEEvDpT3_ ; -- Begin function _Z6kernelI27subtract_right_partial_tileLj256ELj8ELb1EJPdPiS1_jEEvDpT3_
	.globl	_Z6kernelI27subtract_right_partial_tileLj256ELj8ELb1EJPdPiS1_jEEvDpT3_
	.p2align	8
	.type	_Z6kernelI27subtract_right_partial_tileLj256ELj8ELb1EJPdPiS1_jEEvDpT3_,@function
_Z6kernelI27subtract_right_partial_tileLj256ELj8ELb1EJPdPiS1_jEEvDpT3_: ; @_Z6kernelI27subtract_right_partial_tileLj256ELj8ELb1EJPdPiS1_jEEvDpT3_
; %bb.0:
	s_load_dwordx4 s[0:3], s[4:5], 0x0
	s_load_dwordx2 s[8:9], s[4:5], 0x10
	s_lshl_b32 s12, s6, 11
	s_mov_b32 s13, 0
	s_lshl_b64 s[10:11], s[12:13], 3
	s_waitcnt lgkmcnt(0)
	s_add_u32 s0, s0, s10
	s_addc_u32 s1, s1, s11
	v_lshlrev_b32_e32 v1, 3, v0
	v_mov_b32_e32 v2, s1
	v_add_co_u32_e32 v12, vcc, s0, v1
	v_addc_co_u32_e32 v13, vcc, 0, v2, vcc
	global_load_dwordx2 v[4:5], v1, s[0:1]
	global_load_dwordx2 v[2:3], v1, s[0:1] offset:2048
	s_movk_i32 s0, 0x1000
	v_add_co_u32_e32 v18, vcc, s0, v12
	v_addc_co_u32_e32 v19, vcc, 0, v13, vcc
	s_movk_i32 s0, 0x2000
	v_add_co_u32_e32 v10, vcc, s0, v12
	v_addc_co_u32_e32 v11, vcc, 0, v13, vcc
	s_movk_i32 s0, 0x3000
	v_add_co_u32_e32 v20, vcc, s0, v12
	global_load_dwordx2 v[14:15], v[10:11], off offset:-4096
	global_load_dwordx2 v[8:9], v[10:11], off
	global_load_dwordx2 v[6:7], v[10:11], off offset:2048
	v_addc_co_u32_e32 v21, vcc, 0, v13, vcc
	global_load_dwordx2 v[16:17], v[18:19], off offset:2048
	global_load_dwordx2 v[12:13], v[20:21], off
	global_load_dwordx2 v[10:11], v[20:21], off offset:2048
	s_load_dword s4, s[4:5], 0x18
	s_mov_b32 s7, s13
	s_lshl_b64 s[0:1], s[6:7], 2
	s_add_u32 s0, s2, s0
	s_addc_u32 s1, s3, s1
	s_waitcnt lgkmcnt(0)
	v_cvt_f32_u32_e32 v18, s4
	s_load_dword s2, s[0:1], 0x0
	s_sub_i32 s0, 0, s4
	v_or_b32_e32 v20, 1, v1
	v_rcp_iflag_f32_e32 v18, v18
	v_or_b32_e32 v21, 2, v1
	v_or_b32_e32 v22, 3, v1
	;; [unrolled: 1-line block ×3, first 2 shown]
	v_mul_f32_e32 v18, 0x4f7ffffe, v18
	v_cvt_u32_f32_e32 v18, v18
	v_or_b32_e32 v24, 5, v1
	v_or_b32_e32 v25, 6, v1
	;; [unrolled: 1-line block ×3, first 2 shown]
	v_readfirstlane_b32 s1, v18
	s_mul_i32 s0, s0, s1
	s_mul_hi_u32 s0, s1, s0
	s_add_i32 s1, s1, s0
	s_lshr_b32 s0, s1, 21
	s_mul_i32 s1, s0, s4
	s_sub_i32 s1, 0x800, s1
	s_add_i32 s3, s0, 1
	s_sub_i32 s5, s1, s4
	s_cmp_ge_u32 s1, s4
	s_cselect_b32 s0, s3, s0
	s_cselect_b32 s1, s5, s1
	s_add_i32 s3, s0, 1
	s_cmp_ge_u32 s1, s4
	s_cselect_b32 s3, s3, s0
	s_add_i32 s3, s3, 1
	v_add_u32_e32 v27, 8, v1
	v_or_b32_e32 v28, 0x800, v1
	s_max_u32 s4, s4, 1
	s_branch .LBB237_2
.LBB237_1:                              ;   in Loop: Header=BB237_2 Depth=1
	s_or_b64 exec, exec, s[0:1]
	v_add_f64 v[30:31], v[4:5], -v[2:3]
	v_cmp_gt_u32_e32 vcc, s2, v20
	v_cndmask_b32_e32 v31, v5, v31, vcc
	v_cndmask_b32_e32 v30, v4, v30, vcc
	v_add_f64 v[32:33], v[2:3], -v[14:15]
	v_cmp_gt_u32_e32 vcc, s2, v21
	v_cndmask_b32_e32 v33, v3, v33, vcc
	v_cndmask_b32_e32 v32, v2, v32, vcc
	;; [unrolled: 4-line block ×6, first 2 shown]
	v_add_f64 v[42:43], v[12:13], -v[10:11]
	v_cmp_gt_u32_e32 vcc, s2, v26
	s_add_i32 s0, s3, s2
	v_cndmask_b32_e32 v43, v13, v43, vcc
	v_cndmask_b32_e32 v42, v12, v42, vcc
	s_and_b32 s2, s0, 0x7ff
	s_add_i32 s4, s4, -1
	v_add_f64 v[4:5], v[4:5], v[30:31]
	v_add_f64 v[2:3], v[2:3], v[32:33]
	;; [unrolled: 1-line block ×8, first 2 shown]
	s_cmp_lg_u32 s4, 0
	s_barrier
	s_cbranch_scc0 .LBB237_4
.LBB237_2:                              ; =>This Inner Loop Header: Depth=1
	s_waitcnt lgkmcnt(0)
	v_cmp_gt_u32_e32 vcc, s2, v27
	s_waitcnt vmcnt(0)
	v_pk_mov_b32 v[18:19], v[10:11], v[10:11] op_sel:[0,1]
	ds_write_b64 v1, v[4:5] offset:2048
	s_waitcnt lgkmcnt(0)
	s_barrier
	s_and_saveexec_b64 s[0:1], vcc
	s_cbranch_execz .LBB237_1
; %bb.3:                                ;   in Loop: Header=BB237_2 Depth=1
	ds_read_b64 v[18:19], v28 offset:8
	s_waitcnt lgkmcnt(0)
	v_add_f64 v[18:19], v[10:11], -v[18:19]
	s_branch .LBB237_1
.LBB237_4:
	s_add_u32 s0, s8, s10
	s_addc_u32 s1, s9, s11
	v_lshlrev_b32_e32 v0, 3, v0
	v_mov_b32_e32 v1, s1
	v_add_co_u32_e32 v18, vcc, s0, v0
	v_addc_co_u32_e32 v19, vcc, 0, v1, vcc
	global_store_dwordx2 v0, v[4:5], s[0:1]
	global_store_dwordx2 v0, v[2:3], s[0:1] offset:2048
	v_add_co_u32_e32 v0, vcc, 0x1000, v18
	v_addc_co_u32_e32 v1, vcc, 0, v19, vcc
	global_store_dwordx2 v[0:1], v[14:15], off
	global_store_dwordx2 v[0:1], v[16:17], off offset:2048
	v_add_co_u32_e32 v0, vcc, 0x2000, v18
	v_addc_co_u32_e32 v1, vcc, 0, v19, vcc
	global_store_dwordx2 v[0:1], v[8:9], off
	global_store_dwordx2 v[0:1], v[6:7], off offset:2048
	;; [unrolled: 4-line block ×3, first 2 shown]
	s_endpgm
	.section	.rodata,"a",@progbits
	.p2align	6, 0x0
	.amdhsa_kernel _Z6kernelI27subtract_right_partial_tileLj256ELj8ELb1EJPdPiS1_jEEvDpT3_
		.amdhsa_group_segment_fixed_size 4096
		.amdhsa_private_segment_fixed_size 0
		.amdhsa_kernarg_size 28
		.amdhsa_user_sgpr_count 6
		.amdhsa_user_sgpr_private_segment_buffer 1
		.amdhsa_user_sgpr_dispatch_ptr 0
		.amdhsa_user_sgpr_queue_ptr 0
		.amdhsa_user_sgpr_kernarg_segment_ptr 1
		.amdhsa_user_sgpr_dispatch_id 0
		.amdhsa_user_sgpr_flat_scratch_init 0
		.amdhsa_user_sgpr_kernarg_preload_length 0
		.amdhsa_user_sgpr_kernarg_preload_offset 0
		.amdhsa_user_sgpr_private_segment_size 0
		.amdhsa_uses_dynamic_stack 0
		.amdhsa_system_sgpr_private_segment_wavefront_offset 0
		.amdhsa_system_sgpr_workgroup_id_x 1
		.amdhsa_system_sgpr_workgroup_id_y 0
		.amdhsa_system_sgpr_workgroup_id_z 0
		.amdhsa_system_sgpr_workgroup_info 0
		.amdhsa_system_vgpr_workitem_id 0
		.amdhsa_next_free_vgpr 44
		.amdhsa_next_free_sgpr 14
		.amdhsa_accum_offset 44
		.amdhsa_reserve_vcc 1
		.amdhsa_reserve_flat_scratch 0
		.amdhsa_float_round_mode_32 0
		.amdhsa_float_round_mode_16_64 0
		.amdhsa_float_denorm_mode_32 3
		.amdhsa_float_denorm_mode_16_64 3
		.amdhsa_dx10_clamp 1
		.amdhsa_ieee_mode 1
		.amdhsa_fp16_overflow 0
		.amdhsa_tg_split 0
		.amdhsa_exception_fp_ieee_invalid_op 0
		.amdhsa_exception_fp_denorm_src 0
		.amdhsa_exception_fp_ieee_div_zero 0
		.amdhsa_exception_fp_ieee_overflow 0
		.amdhsa_exception_fp_ieee_underflow 0
		.amdhsa_exception_fp_ieee_inexact 0
		.amdhsa_exception_int_div_zero 0
	.end_amdhsa_kernel
	.section	.text._Z6kernelI27subtract_right_partial_tileLj256ELj8ELb1EJPdPiS1_jEEvDpT3_,"axG",@progbits,_Z6kernelI27subtract_right_partial_tileLj256ELj8ELb1EJPdPiS1_jEEvDpT3_,comdat
.Lfunc_end237:
	.size	_Z6kernelI27subtract_right_partial_tileLj256ELj8ELb1EJPdPiS1_jEEvDpT3_, .Lfunc_end237-_Z6kernelI27subtract_right_partial_tileLj256ELj8ELb1EJPdPiS1_jEEvDpT3_
                                        ; -- End function
	.section	.AMDGPU.csdata,"",@progbits
; Kernel info:
; codeLenInByte = 764
; NumSgprs: 18
; NumVgprs: 44
; NumAgprs: 0
; TotalNumVgprs: 44
; ScratchSize: 0
; MemoryBound: 0
; FloatMode: 240
; IeeeMode: 1
; LDSByteSize: 4096 bytes/workgroup (compile time only)
; SGPRBlocks: 2
; VGPRBlocks: 5
; NumSGPRsForWavesPerEU: 18
; NumVGPRsForWavesPerEU: 44
; AccumOffset: 44
; Occupancy: 8
; WaveLimiterHint : 1
; COMPUTE_PGM_RSRC2:SCRATCH_EN: 0
; COMPUTE_PGM_RSRC2:USER_SGPR: 6
; COMPUTE_PGM_RSRC2:TRAP_HANDLER: 0
; COMPUTE_PGM_RSRC2:TGID_X_EN: 1
; COMPUTE_PGM_RSRC2:TGID_Y_EN: 0
; COMPUTE_PGM_RSRC2:TGID_Z_EN: 0
; COMPUTE_PGM_RSRC2:TIDIG_COMP_CNT: 0
; COMPUTE_PGM_RSRC3_GFX90A:ACCUM_OFFSET: 10
; COMPUTE_PGM_RSRC3_GFX90A:TG_SPLIT: 0
	.section	.text._Z6kernelI27subtract_right_partial_tileLj256ELj16ELb1EJPdPiS1_jEEvDpT3_,"axG",@progbits,_Z6kernelI27subtract_right_partial_tileLj256ELj16ELb1EJPdPiS1_jEEvDpT3_,comdat
	.protected	_Z6kernelI27subtract_right_partial_tileLj256ELj16ELb1EJPdPiS1_jEEvDpT3_ ; -- Begin function _Z6kernelI27subtract_right_partial_tileLj256ELj16ELb1EJPdPiS1_jEEvDpT3_
	.globl	_Z6kernelI27subtract_right_partial_tileLj256ELj16ELb1EJPdPiS1_jEEvDpT3_
	.p2align	8
	.type	_Z6kernelI27subtract_right_partial_tileLj256ELj16ELb1EJPdPiS1_jEEvDpT3_,@function
_Z6kernelI27subtract_right_partial_tileLj256ELj16ELb1EJPdPiS1_jEEvDpT3_: ; @_Z6kernelI27subtract_right_partial_tileLj256ELj16ELb1EJPdPiS1_jEEvDpT3_
; %bb.0:
	s_load_dwordx4 s[0:3], s[4:5], 0x0
	s_load_dwordx2 s[8:9], s[4:5], 0x10
	s_lshl_b32 s12, s6, 12
	s_mov_b32 s13, 0
	s_lshl_b64 s[10:11], s[12:13], 3
	s_waitcnt lgkmcnt(0)
	s_add_u32 s0, s0, s10
	s_addc_u32 s1, s1, s11
	v_lshlrev_b32_e32 v1, 3, v0
	v_mov_b32_e32 v2, s1
	v_add_co_u32_e32 v28, vcc, s0, v1
	v_addc_co_u32_e32 v29, vcc, 0, v2, vcc
	global_load_dwordx2 v[4:5], v1, s[0:1]
	global_load_dwordx2 v[2:3], v1, s[0:1] offset:2048
	s_movk_i32 s0, 0x1000
	v_add_co_u32_e32 v34, vcc, s0, v28
	v_addc_co_u32_e32 v35, vcc, 0, v29, vcc
	s_movk_i32 s0, 0x2000
	v_add_co_u32_e32 v6, vcc, s0, v28
	v_addc_co_u32_e32 v7, vcc, 0, v29, vcc
	;; [unrolled: 3-line block ×6, first 2 shown]
	s_movk_i32 s0, 0x7000
	v_add_co_u32_e32 v40, vcc, s0, v28
	global_load_dwordx2 v[26:27], v[6:7], off offset:-4096
	global_load_dwordx2 v[20:21], v[6:7], off
	global_load_dwordx2 v[18:19], v[6:7], off offset:2048
	global_load_dwordx2 v[10:11], v[12:13], off offset:-4096
	global_load_dwordx2 v[24:25], v[12:13], off
	global_load_dwordx2 v[22:23], v[12:13], off offset:2048
	;; [unrolled: 3-line block ×3, first 2 shown]
	v_addc_co_u32_e32 v41, vcc, 0, v29, vcc
	global_load_dwordx2 v[32:33], v[34:35], off offset:2048
	global_load_dwordx2 v[30:31], v[36:37], off offset:2048
	;; [unrolled: 1-line block ×3, first 2 shown]
	global_load_dwordx2 v[14:15], v[40:41], off
	global_load_dwordx2 v[12:13], v[40:41], off offset:2048
	s_load_dword s4, s[4:5], 0x18
	s_mov_b32 s7, s13
	s_lshl_b64 s[0:1], s[6:7], 2
	s_add_u32 s0, s2, s0
	s_addc_u32 s1, s3, s1
	s_waitcnt lgkmcnt(0)
	v_cvt_f32_u32_e32 v34, s4
	s_load_dword s2, s[0:1], 0x0
	s_sub_i32 s0, 0, s4
	v_or_b32_e32 v52, 0x800, v1
	v_rcp_iflag_f32_e32 v34, v34
	v_mul_f32_e32 v34, 0x4f7ffffe, v34
	v_cvt_u32_f32_e32 v34, v34
	v_readfirstlane_b32 s1, v34
	s_mul_i32 s0, s0, s1
	s_mul_hi_u32 s0, s1, s0
	s_add_i32 s1, s1, s0
	s_lshr_b32 s0, s1, 20
	s_mul_i32 s1, s0, s4
	s_sub_i32 s1, 0x1000, s1
	s_add_i32 s3, s0, 1
	s_sub_i32 s5, s1, s4
	s_cmp_ge_u32 s1, s4
	s_cselect_b32 s0, s3, s0
	s_cselect_b32 s1, s5, s1
	s_add_i32 s3, s0, 1
	s_cmp_ge_u32 s1, s4
	s_cselect_b32 s3, s3, s0
	v_lshlrev_b32_e32 v34, 4, v0
	s_add_i32 s3, s3, 1
	v_or_b32_e32 v36, 1, v34
	v_or_b32_e32 v37, 2, v34
	;; [unrolled: 1-line block ×15, first 2 shown]
	v_add_u32_e32 v51, 16, v34
	s_max_u32 s4, s4, 1
	s_branch .LBB238_2
.LBB238_1:                              ;   in Loop: Header=BB238_2 Depth=1
	s_or_b64 exec, exec, s[0:1]
	v_add_f64 v[54:55], v[4:5], -v[2:3]
	v_cmp_gt_u32_e32 vcc, s2, v36
	v_cndmask_b32_e32 v55, v5, v55, vcc
	v_cndmask_b32_e32 v54, v4, v54, vcc
	v_add_f64 v[56:57], v[2:3], -v[26:27]
	v_cmp_gt_u32_e32 vcc, s2, v37
	v_cndmask_b32_e32 v57, v3, v57, vcc
	v_cndmask_b32_e32 v56, v2, v56, vcc
	;; [unrolled: 4-line block ×14, first 2 shown]
	v_add_f64 v[82:83], v[14:15], -v[12:13]
	v_cmp_gt_u32_e32 vcc, s2, v50
	s_add_i32 s0, s3, s2
	v_cndmask_b32_e32 v83, v15, v83, vcc
	v_cndmask_b32_e32 v82, v14, v82, vcc
	s_and_b32 s2, s0, 0xfff
	s_add_i32 s4, s4, -1
	v_add_f64 v[4:5], v[4:5], v[54:55]
	v_add_f64 v[2:3], v[2:3], v[56:57]
	;; [unrolled: 1-line block ×16, first 2 shown]
	s_cmp_lg_u32 s4, 0
	s_barrier
	s_cbranch_scc0 .LBB238_4
.LBB238_2:                              ; =>This Inner Loop Header: Depth=1
	s_waitcnt lgkmcnt(0)
	v_cmp_gt_u32_e32 vcc, s2, v51
	s_waitcnt vmcnt(0)
	v_pk_mov_b32 v[34:35], v[12:13], v[12:13] op_sel:[0,1]
	ds_write_b64 v1, v[4:5] offset:2048
	s_waitcnt lgkmcnt(0)
	s_barrier
	s_and_saveexec_b64 s[0:1], vcc
	s_cbranch_execz .LBB238_1
; %bb.3:                                ;   in Loop: Header=BB238_2 Depth=1
	ds_read_b64 v[34:35], v52 offset:8
	s_waitcnt lgkmcnt(0)
	v_add_f64 v[34:35], v[12:13], -v[34:35]
	s_branch .LBB238_1
.LBB238_4:
	s_add_u32 s0, s8, s10
	s_addc_u32 s1, s9, s11
	v_lshlrev_b32_e32 v0, 3, v0
	v_mov_b32_e32 v1, s1
	v_add_co_u32_e32 v34, vcc, s0, v0
	v_addc_co_u32_e32 v35, vcc, 0, v1, vcc
	global_store_dwordx2 v0, v[4:5], s[0:1]
	global_store_dwordx2 v0, v[2:3], s[0:1] offset:2048
	v_add_co_u32_e32 v0, vcc, 0x1000, v34
	v_addc_co_u32_e32 v1, vcc, 0, v35, vcc
	global_store_dwordx2 v[0:1], v[26:27], off
	global_store_dwordx2 v[0:1], v[32:33], off offset:2048
	v_add_co_u32_e32 v0, vcc, 0x2000, v34
	v_addc_co_u32_e32 v1, vcc, 0, v35, vcc
	global_store_dwordx2 v[0:1], v[20:21], off
	global_store_dwordx2 v[0:1], v[18:19], off offset:2048
	;; [unrolled: 4-line block ×7, first 2 shown]
	s_endpgm
	.section	.rodata,"a",@progbits
	.p2align	6, 0x0
	.amdhsa_kernel _Z6kernelI27subtract_right_partial_tileLj256ELj16ELb1EJPdPiS1_jEEvDpT3_
		.amdhsa_group_segment_fixed_size 4096
		.amdhsa_private_segment_fixed_size 0
		.amdhsa_kernarg_size 28
		.amdhsa_user_sgpr_count 6
		.amdhsa_user_sgpr_private_segment_buffer 1
		.amdhsa_user_sgpr_dispatch_ptr 0
		.amdhsa_user_sgpr_queue_ptr 0
		.amdhsa_user_sgpr_kernarg_segment_ptr 1
		.amdhsa_user_sgpr_dispatch_id 0
		.amdhsa_user_sgpr_flat_scratch_init 0
		.amdhsa_user_sgpr_kernarg_preload_length 0
		.amdhsa_user_sgpr_kernarg_preload_offset 0
		.amdhsa_user_sgpr_private_segment_size 0
		.amdhsa_uses_dynamic_stack 0
		.amdhsa_system_sgpr_private_segment_wavefront_offset 0
		.amdhsa_system_sgpr_workgroup_id_x 1
		.amdhsa_system_sgpr_workgroup_id_y 0
		.amdhsa_system_sgpr_workgroup_id_z 0
		.amdhsa_system_sgpr_workgroup_info 0
		.amdhsa_system_vgpr_workitem_id 0
		.amdhsa_next_free_vgpr 84
		.amdhsa_next_free_sgpr 14
		.amdhsa_accum_offset 84
		.amdhsa_reserve_vcc 1
		.amdhsa_reserve_flat_scratch 0
		.amdhsa_float_round_mode_32 0
		.amdhsa_float_round_mode_16_64 0
		.amdhsa_float_denorm_mode_32 3
		.amdhsa_float_denorm_mode_16_64 3
		.amdhsa_dx10_clamp 1
		.amdhsa_ieee_mode 1
		.amdhsa_fp16_overflow 0
		.amdhsa_tg_split 0
		.amdhsa_exception_fp_ieee_invalid_op 0
		.amdhsa_exception_fp_denorm_src 0
		.amdhsa_exception_fp_ieee_div_zero 0
		.amdhsa_exception_fp_ieee_overflow 0
		.amdhsa_exception_fp_ieee_underflow 0
		.amdhsa_exception_fp_ieee_inexact 0
		.amdhsa_exception_int_div_zero 0
	.end_amdhsa_kernel
	.section	.text._Z6kernelI27subtract_right_partial_tileLj256ELj16ELb1EJPdPiS1_jEEvDpT3_,"axG",@progbits,_Z6kernelI27subtract_right_partial_tileLj256ELj16ELb1EJPdPiS1_jEEvDpT3_,comdat
.Lfunc_end238:
	.size	_Z6kernelI27subtract_right_partial_tileLj256ELj16ELb1EJPdPiS1_jEEvDpT3_, .Lfunc_end238-_Z6kernelI27subtract_right_partial_tileLj256ELj16ELb1EJPdPiS1_jEEvDpT3_
                                        ; -- End function
	.section	.AMDGPU.csdata,"",@progbits
; Kernel info:
; codeLenInByte = 1248
; NumSgprs: 18
; NumVgprs: 84
; NumAgprs: 0
; TotalNumVgprs: 84
; ScratchSize: 0
; MemoryBound: 0
; FloatMode: 240
; IeeeMode: 1
; LDSByteSize: 4096 bytes/workgroup (compile time only)
; SGPRBlocks: 2
; VGPRBlocks: 10
; NumSGPRsForWavesPerEU: 18
; NumVGPRsForWavesPerEU: 84
; AccumOffset: 84
; Occupancy: 5
; WaveLimiterHint : 1
; COMPUTE_PGM_RSRC2:SCRATCH_EN: 0
; COMPUTE_PGM_RSRC2:USER_SGPR: 6
; COMPUTE_PGM_RSRC2:TRAP_HANDLER: 0
; COMPUTE_PGM_RSRC2:TGID_X_EN: 1
; COMPUTE_PGM_RSRC2:TGID_Y_EN: 0
; COMPUTE_PGM_RSRC2:TGID_Z_EN: 0
; COMPUTE_PGM_RSRC2:TIDIG_COMP_CNT: 0
; COMPUTE_PGM_RSRC3_GFX90A:ACCUM_OFFSET: 20
; COMPUTE_PGM_RSRC3_GFX90A:TG_SPLIT: 0
	.section	.text._Z6kernelI27subtract_right_partial_tileLj256ELj32ELb1EJPdPiS1_jEEvDpT3_,"axG",@progbits,_Z6kernelI27subtract_right_partial_tileLj256ELj32ELb1EJPdPiS1_jEEvDpT3_,comdat
	.protected	_Z6kernelI27subtract_right_partial_tileLj256ELj32ELb1EJPdPiS1_jEEvDpT3_ ; -- Begin function _Z6kernelI27subtract_right_partial_tileLj256ELj32ELb1EJPdPiS1_jEEvDpT3_
	.globl	_Z6kernelI27subtract_right_partial_tileLj256ELj32ELb1EJPdPiS1_jEEvDpT3_
	.p2align	8
	.type	_Z6kernelI27subtract_right_partial_tileLj256ELj32ELb1EJPdPiS1_jEEvDpT3_,@function
_Z6kernelI27subtract_right_partial_tileLj256ELj32ELb1EJPdPiS1_jEEvDpT3_: ; @_Z6kernelI27subtract_right_partial_tileLj256ELj32ELb1EJPdPiS1_jEEvDpT3_
; %bb.0:
	s_load_dwordx4 s[0:3], s[4:5], 0x0
	s_load_dwordx2 s[8:9], s[4:5], 0x10
	s_lshl_b32 s12, s6, 13
	s_mov_b32 s13, 0
	s_lshl_b64 s[10:11], s[12:13], 3
	s_waitcnt lgkmcnt(0)
	s_add_u32 s0, s0, s10
	s_addc_u32 s1, s1, s11
	v_lshlrev_b32_e32 v1, 3, v0
	v_mov_b32_e32 v2, s1
	v_add_co_u32_e32 v46, vcc, s0, v1
	v_addc_co_u32_e32 v47, vcc, 0, v2, vcc
	s_movk_i32 s7, 0x1000
	v_add_co_u32_e32 v30, vcc, s7, v46
	v_addc_co_u32_e32 v31, vcc, 0, v47, vcc
	s_movk_i32 s7, 0x2000
	;; [unrolled: 3-line block ×7, first 2 shown]
	v_add_co_u32_e32 v42, vcc, s7, v46
	v_addc_co_u32_e32 v43, vcc, 0, v47, vcc
	s_mov_b32 s7, 0x8000
	v_add_co_u32_e32 v44, vcc, s7, v46
	v_addc_co_u32_e32 v45, vcc, 0, v47, vcc
	s_mov_b32 s7, 0x9000
	v_add_co_u32_e32 v66, vcc, s7, v46
	v_addc_co_u32_e32 v67, vcc, 0, v47, vcc
	s_mov_b32 s7, 0xa000
	global_load_dwordx2 v[22:23], v[2:3], off offset:-4096
	global_load_dwordx2 v[10:11], v[2:3], off
	global_load_dwordx2 v[8:9], v[2:3], off offset:2048
	global_load_dwordx2 v[4:5], v[12:13], off offset:-4096
	global_load_dwordx2 v[18:19], v[12:13], off
	global_load_dwordx2 v[16:17], v[12:13], off offset:2048
	global_load_dwordx2 v[6:7], v[36:37], off offset:-4096
	s_nop 0
	global_load_dwordx2 v[2:3], v[36:37], off
	global_load_dwordx2 v[40:41], v[30:31], off offset:2048
	global_load_dwordx2 v[38:39], v[32:33], off offset:2048
	;; [unrolled: 1-line block ×5, first 2 shown]
	global_load_dwordx2 v[24:25], v[44:45], off offset:-4096
	global_load_dwordx2 v[14:15], v[44:45], off
	global_load_dwordx2 v[12:13], v[44:45], off offset:2048
	v_add_co_u32_e32 v42, vcc, s7, v46
	v_addc_co_u32_e32 v43, vcc, 0, v47, vcc
	s_mov_b32 s7, 0xb000
	v_add_co_u32_e32 v68, vcc, s7, v46
	v_addc_co_u32_e32 v69, vcc, 0, v47, vcc
	s_mov_b32 s7, 0xc000
	;; [unrolled: 3-line block ×5, first 2 shown]
	v_add_co_u32_e32 v76, vcc, s7, v46
	global_load_dwordx2 v[36:37], v[42:43], off offset:-4096
	global_load_dwordx2 v[34:35], v[42:43], off
	global_load_dwordx2 v[32:33], v[42:43], off offset:2048
	global_load_dwordx2 v[30:31], v[70:71], off offset:-4096
	v_addc_co_u32_e32 v77, vcc, 0, v47, vcc
	global_load_dwordx2 v[56:57], v[70:71], off
	global_load_dwordx2 v[54:55], v[70:71], off offset:2048
	global_load_dwordx2 v[50:51], v[74:75], off offset:-4096
	global_load_dwordx2 v[48:49], v[74:75], off
	global_load_dwordx2 v[46:47], v[74:75], off offset:2048
	global_load_dwordx2 v[60:61], v[66:67], off offset:2048
	;; [unrolled: 1-line block ×4, first 2 shown]
	global_load_dwordx2 v[44:45], v[76:77], off
	global_load_dwordx2 v[42:43], v[76:77], off offset:2048
	global_load_dwordx2 v[64:65], v1, s[0:1]
	global_load_dwordx2 v[62:63], v1, s[0:1] offset:2048
	s_load_dword s4, s[4:5], 0x18
	s_mov_b32 s7, s13
	s_lshl_b64 s[0:1], s[6:7], 2
	s_add_u32 s0, s2, s0
	s_addc_u32 s1, s3, s1
	s_waitcnt lgkmcnt(0)
	v_cvt_f32_u32_e32 v66, s4
	s_load_dword s2, s[0:1], 0x0
	s_sub_i32 s0, 0, s4
	v_or_b32_e32 v100, 0x800, v1
	v_rcp_iflag_f32_e32 v66, v66
	v_mul_f32_e32 v66, 0x4f7ffffe, v66
	v_cvt_u32_f32_e32 v66, v66
	v_readfirstlane_b32 s5, v66
	s_mul_i32 s0, s0, s5
	s_mul_hi_u32 s0, s5, s0
	s_add_i32 s5, s5, s0
	s_lshr_b32 s0, s5, 19
	s_mul_i32 s1, s0, s4
	s_sub_i32 s1, 0x2000, s1
	s_add_i32 s3, s0, 1
	s_sub_i32 s5, s1, s4
	s_cmp_ge_u32 s1, s4
	s_cselect_b32 s0, s3, s0
	s_cselect_b32 s1, s5, s1
	s_add_i32 s3, s0, 1
	s_cmp_ge_u32 s1, s4
	s_cselect_b32 s3, s3, s0
	v_lshlrev_b32_e32 v66, 5, v0
	s_add_i32 s3, s3, 1
	v_or_b32_e32 v68, 1, v66
	v_or_b32_e32 v69, 2, v66
	;; [unrolled: 1-line block ×31, first 2 shown]
	v_add_u32_e32 v99, 32, v66
	s_max_u32 s4, s4, 1
	s_branch .LBB239_2
.LBB239_1:                              ;   in Loop: Header=BB239_2 Depth=1
	s_or_b64 exec, exec, s[0:1]
	s_waitcnt vmcnt(0)
	v_add_f64 v[102:103], v[64:65], -v[62:63]
	v_cmp_gt_u32_e32 vcc, s2, v68
	v_cndmask_b32_e32 v103, v65, v103, vcc
	v_cndmask_b32_e32 v102, v64, v102, vcc
	v_add_f64 v[104:105], v[62:63], -v[22:23]
	v_cmp_gt_u32_e32 vcc, s2, v69
	v_cndmask_b32_e32 v105, v63, v105, vcc
	v_cndmask_b32_e32 v104, v62, v104, vcc
	;; [unrolled: 4-line block ×30, first 2 shown]
	v_add_f64 v[162:163], v[44:45], -v[42:43]
	v_cmp_gt_u32_e32 vcc, s2, v98
	s_add_i32 s0, s3, s2
	v_cndmask_b32_e32 v163, v45, v163, vcc
	v_cndmask_b32_e32 v162, v44, v162, vcc
	s_and_b32 s2, s0, 0x1fff
	s_add_i32 s4, s4, -1
	v_add_f64 v[64:65], v[64:65], v[102:103]
	v_add_f64 v[62:63], v[62:63], v[104:105]
	;; [unrolled: 1-line block ×32, first 2 shown]
	s_cmp_lg_u32 s4, 0
	s_barrier
	s_cbranch_scc0 .LBB239_4
.LBB239_2:                              ; =>This Inner Loop Header: Depth=1
	s_waitcnt lgkmcnt(0)
	v_cmp_gt_u32_e32 vcc, s2, v99
	s_waitcnt vmcnt(2)
	v_pk_mov_b32 v[66:67], v[42:43], v[42:43] op_sel:[0,1]
	s_waitcnt vmcnt(1)
	ds_write_b64 v1, v[64:65] offset:2048
	s_waitcnt lgkmcnt(0)
	s_barrier
	s_and_saveexec_b64 s[0:1], vcc
	s_cbranch_execz .LBB239_1
; %bb.3:                                ;   in Loop: Header=BB239_2 Depth=1
	ds_read_b64 v[66:67], v100 offset:8
	s_waitcnt lgkmcnt(0)
	v_add_f64 v[66:67], v[42:43], -v[66:67]
	s_branch .LBB239_1
.LBB239_4:
	s_add_u32 s0, s8, s10
	s_addc_u32 s1, s9, s11
	v_lshlrev_b32_e32 v0, 3, v0
	v_mov_b32_e32 v1, s1
	v_add_co_u32_e32 v66, vcc, s0, v0
	v_addc_co_u32_e32 v67, vcc, 0, v1, vcc
	global_store_dwordx2 v0, v[64:65], s[0:1]
	global_store_dwordx2 v0, v[62:63], s[0:1] offset:2048
	v_add_co_u32_e32 v0, vcc, 0x1000, v66
	v_addc_co_u32_e32 v1, vcc, 0, v67, vcc
	global_store_dwordx2 v[0:1], v[22:23], off
	global_store_dwordx2 v[0:1], v[40:41], off offset:2048
	v_add_co_u32_e32 v0, vcc, 0x2000, v66
	v_addc_co_u32_e32 v1, vcc, 0, v67, vcc
	global_store_dwordx2 v[0:1], v[10:11], off
	global_store_dwordx2 v[0:1], v[8:9], off offset:2048
	;; [unrolled: 4-line block ×15, first 2 shown]
	s_endpgm
	.section	.rodata,"a",@progbits
	.p2align	6, 0x0
	.amdhsa_kernel _Z6kernelI27subtract_right_partial_tileLj256ELj32ELb1EJPdPiS1_jEEvDpT3_
		.amdhsa_group_segment_fixed_size 4096
		.amdhsa_private_segment_fixed_size 0
		.amdhsa_kernarg_size 28
		.amdhsa_user_sgpr_count 6
		.amdhsa_user_sgpr_private_segment_buffer 1
		.amdhsa_user_sgpr_dispatch_ptr 0
		.amdhsa_user_sgpr_queue_ptr 0
		.amdhsa_user_sgpr_kernarg_segment_ptr 1
		.amdhsa_user_sgpr_dispatch_id 0
		.amdhsa_user_sgpr_flat_scratch_init 0
		.amdhsa_user_sgpr_kernarg_preload_length 0
		.amdhsa_user_sgpr_kernarg_preload_offset 0
		.amdhsa_user_sgpr_private_segment_size 0
		.amdhsa_uses_dynamic_stack 0
		.amdhsa_system_sgpr_private_segment_wavefront_offset 0
		.amdhsa_system_sgpr_workgroup_id_x 1
		.amdhsa_system_sgpr_workgroup_id_y 0
		.amdhsa_system_sgpr_workgroup_id_z 0
		.amdhsa_system_sgpr_workgroup_info 0
		.amdhsa_system_vgpr_workitem_id 0
		.amdhsa_next_free_vgpr 164
		.amdhsa_next_free_sgpr 14
		.amdhsa_accum_offset 164
		.amdhsa_reserve_vcc 1
		.amdhsa_reserve_flat_scratch 0
		.amdhsa_float_round_mode_32 0
		.amdhsa_float_round_mode_16_64 0
		.amdhsa_float_denorm_mode_32 3
		.amdhsa_float_denorm_mode_16_64 3
		.amdhsa_dx10_clamp 1
		.amdhsa_ieee_mode 1
		.amdhsa_fp16_overflow 0
		.amdhsa_tg_split 0
		.amdhsa_exception_fp_ieee_invalid_op 0
		.amdhsa_exception_fp_denorm_src 0
		.amdhsa_exception_fp_ieee_div_zero 0
		.amdhsa_exception_fp_ieee_overflow 0
		.amdhsa_exception_fp_ieee_underflow 0
		.amdhsa_exception_fp_ieee_inexact 0
		.amdhsa_exception_int_div_zero 0
	.end_amdhsa_kernel
	.section	.text._Z6kernelI27subtract_right_partial_tileLj256ELj32ELb1EJPdPiS1_jEEvDpT3_,"axG",@progbits,_Z6kernelI27subtract_right_partial_tileLj256ELj32ELb1EJPdPiS1_jEEvDpT3_,comdat
.Lfunc_end239:
	.size	_Z6kernelI27subtract_right_partial_tileLj256ELj32ELb1EJPdPiS1_jEEvDpT3_, .Lfunc_end239-_Z6kernelI27subtract_right_partial_tileLj256ELj32ELb1EJPdPiS1_jEEvDpT3_
                                        ; -- End function
	.section	.AMDGPU.csdata,"",@progbits
; Kernel info:
; codeLenInByte = 2252
; NumSgprs: 18
; NumVgprs: 164
; NumAgprs: 0
; TotalNumVgprs: 164
; ScratchSize: 0
; MemoryBound: 0
; FloatMode: 240
; IeeeMode: 1
; LDSByteSize: 4096 bytes/workgroup (compile time only)
; SGPRBlocks: 2
; VGPRBlocks: 20
; NumSGPRsForWavesPerEU: 18
; NumVGPRsForWavesPerEU: 164
; AccumOffset: 164
; Occupancy: 3
; WaveLimiterHint : 1
; COMPUTE_PGM_RSRC2:SCRATCH_EN: 0
; COMPUTE_PGM_RSRC2:USER_SGPR: 6
; COMPUTE_PGM_RSRC2:TRAP_HANDLER: 0
; COMPUTE_PGM_RSRC2:TGID_X_EN: 1
; COMPUTE_PGM_RSRC2:TGID_Y_EN: 0
; COMPUTE_PGM_RSRC2:TGID_Z_EN: 0
; COMPUTE_PGM_RSRC2:TIDIG_COMP_CNT: 0
; COMPUTE_PGM_RSRC3_GFX90A:ACCUM_OFFSET: 40
; COMPUTE_PGM_RSRC3_GFX90A:TG_SPLIT: 0
	.text
	.p2alignl 6, 3212836864
	.fill 256, 4, 3212836864
	.type	__hip_cuid_2592bc89ae7dfb1c,@object ; @__hip_cuid_2592bc89ae7dfb1c
	.section	.bss,"aw",@nobits
	.globl	__hip_cuid_2592bc89ae7dfb1c
__hip_cuid_2592bc89ae7dfb1c:
	.byte	0                               ; 0x0
	.size	__hip_cuid_2592bc89ae7dfb1c, 1

	.ident	"AMD clang version 19.0.0git (https://github.com/RadeonOpenCompute/llvm-project roc-6.4.0 25133 c7fe45cf4b819c5991fe208aaa96edf142730f1d)"
	.section	".note.GNU-stack","",@progbits
	.addrsig
	.addrsig_sym __hip_cuid_2592bc89ae7dfb1c
	.amdgpu_metadata
---
amdhsa.kernels:
  - .agpr_count:     0
    .args:
      - .address_space:  global
        .offset:         0
        .size:           8
        .value_kind:     global_buffer
      - .address_space:  global
        .offset:         8
        .size:           8
        .value_kind:     global_buffer
      - .offset:         16
        .size:           4
        .value_kind:     by_value
    .group_segment_fixed_size: 2048
    .kernarg_segment_align: 8
    .kernarg_segment_size: 20
    .language:       OpenCL C
    .language_version:
      - 2
      - 0
    .max_flat_workgroup_size: 256
    .name:           _Z6kernelI13subtract_leftLj256ELj1ELb0EJPiS1_jEEvDpT3_
    .private_segment_fixed_size: 0
    .sgpr_count:     12
    .sgpr_spill_count: 0
    .symbol:         _Z6kernelI13subtract_leftLj256ELj1ELb0EJPiS1_jEEvDpT3_.kd
    .uniform_work_group_size: 1
    .uses_dynamic_stack: false
    .vgpr_count:     4
    .vgpr_spill_count: 0
    .wavefront_size: 64
  - .agpr_count:     0
    .args:
      - .address_space:  global
        .offset:         0
        .size:           8
        .value_kind:     global_buffer
      - .address_space:  global
        .offset:         8
        .size:           8
        .value_kind:     global_buffer
      - .offset:         16
        .size:           4
        .value_kind:     by_value
    .group_segment_fixed_size: 2048
    .kernarg_segment_align: 8
    .kernarg_segment_size: 20
    .language:       OpenCL C
    .language_version:
      - 2
      - 0
    .max_flat_workgroup_size: 256
    .name:           _Z6kernelI13subtract_leftLj256ELj3ELb0EJPiS1_jEEvDpT3_
    .private_segment_fixed_size: 0
    .sgpr_count:     12
    .sgpr_spill_count: 0
    .symbol:         _Z6kernelI13subtract_leftLj256ELj3ELb0EJPiS1_jEEvDpT3_.kd
    .uniform_work_group_size: 1
    .uses_dynamic_stack: false
    .vgpr_count:     8
    .vgpr_spill_count: 0
    .wavefront_size: 64
  - .agpr_count:     0
    .args:
      - .address_space:  global
        .offset:         0
        .size:           8
        .value_kind:     global_buffer
      - .address_space:  global
        .offset:         8
        .size:           8
        .value_kind:     global_buffer
      - .offset:         16
        .size:           4
        .value_kind:     by_value
    .group_segment_fixed_size: 2048
    .kernarg_segment_align: 8
    .kernarg_segment_size: 20
    .language:       OpenCL C
    .language_version:
      - 2
      - 0
    .max_flat_workgroup_size: 256
    .name:           _Z6kernelI13subtract_leftLj256ELj4ELb0EJPiS1_jEEvDpT3_
    .private_segment_fixed_size: 0
    .sgpr_count:     12
    .sgpr_spill_count: 0
    .symbol:         _Z6kernelI13subtract_leftLj256ELj4ELb0EJPiS1_jEEvDpT3_.kd
    .uniform_work_group_size: 1
    .uses_dynamic_stack: false
    .vgpr_count:     10
    .vgpr_spill_count: 0
    .wavefront_size: 64
  - .agpr_count:     0
    .args:
      - .address_space:  global
        .offset:         0
        .size:           8
        .value_kind:     global_buffer
      - .address_space:  global
        .offset:         8
        .size:           8
        .value_kind:     global_buffer
      - .offset:         16
        .size:           4
        .value_kind:     by_value
    .group_segment_fixed_size: 2048
    .kernarg_segment_align: 8
    .kernarg_segment_size: 20
    .language:       OpenCL C
    .language_version:
      - 2
      - 0
    .max_flat_workgroup_size: 256
    .name:           _Z6kernelI13subtract_leftLj256ELj8ELb0EJPiS1_jEEvDpT3_
    .private_segment_fixed_size: 0
    .sgpr_count:     12
    .sgpr_spill_count: 0
    .symbol:         _Z6kernelI13subtract_leftLj256ELj8ELb0EJPiS1_jEEvDpT3_.kd
    .uniform_work_group_size: 1
    .uses_dynamic_stack: false
    .vgpr_count:     17
    .vgpr_spill_count: 0
    .wavefront_size: 64
  - .agpr_count:     0
    .args:
      - .address_space:  global
        .offset:         0
        .size:           8
        .value_kind:     global_buffer
      - .address_space:  global
        .offset:         8
        .size:           8
        .value_kind:     global_buffer
      - .offset:         16
        .size:           4
        .value_kind:     by_value
    .group_segment_fixed_size: 2048
    .kernarg_segment_align: 8
    .kernarg_segment_size: 20
    .language:       OpenCL C
    .language_version:
      - 2
      - 0
    .max_flat_workgroup_size: 256
    .name:           _Z6kernelI13subtract_leftLj256ELj16ELb0EJPiS1_jEEvDpT3_
    .private_segment_fixed_size: 0
    .sgpr_count:     12
    .sgpr_spill_count: 0
    .symbol:         _Z6kernelI13subtract_leftLj256ELj16ELb0EJPiS1_jEEvDpT3_.kd
    .uniform_work_group_size: 1
    .uses_dynamic_stack: false
    .vgpr_count:     34
    .vgpr_spill_count: 0
    .wavefront_size: 64
  - .agpr_count:     0
    .args:
      - .address_space:  global
        .offset:         0
        .size:           8
        .value_kind:     global_buffer
      - .address_space:  global
        .offset:         8
        .size:           8
        .value_kind:     global_buffer
      - .offset:         16
        .size:           4
        .value_kind:     by_value
    .group_segment_fixed_size: 2048
    .kernarg_segment_align: 8
    .kernarg_segment_size: 20
    .language:       OpenCL C
    .language_version:
      - 2
      - 0
    .max_flat_workgroup_size: 256
    .name:           _Z6kernelI13subtract_leftLj256ELj32ELb0EJPiS1_jEEvDpT3_
    .private_segment_fixed_size: 0
    .sgpr_count:     12
    .sgpr_spill_count: 0
    .symbol:         _Z6kernelI13subtract_leftLj256ELj32ELb0EJPiS1_jEEvDpT3_.kd
    .uniform_work_group_size: 1
    .uses_dynamic_stack: false
    .vgpr_count:     62
    .vgpr_spill_count: 0
    .wavefront_size: 64
  - .agpr_count:     0
    .args:
      - .address_space:  global
        .offset:         0
        .size:           8
        .value_kind:     global_buffer
      - .address_space:  global
        .offset:         8
        .size:           8
        .value_kind:     global_buffer
      - .offset:         16
        .size:           4
        .value_kind:     by_value
    .group_segment_fixed_size: 2048
    .kernarg_segment_align: 8
    .kernarg_segment_size: 20
    .language:       OpenCL C
    .language_version:
      - 2
      - 0
    .max_flat_workgroup_size: 256
    .name:           _Z6kernelI13subtract_leftLj256ELj1ELb0EJPfS1_jEEvDpT3_
    .private_segment_fixed_size: 0
    .sgpr_count:     12
    .sgpr_spill_count: 0
    .symbol:         _Z6kernelI13subtract_leftLj256ELj1ELb0EJPfS1_jEEvDpT3_.kd
    .uniform_work_group_size: 1
    .uses_dynamic_stack: false
    .vgpr_count:     4
    .vgpr_spill_count: 0
    .wavefront_size: 64
  - .agpr_count:     0
    .args:
      - .address_space:  global
        .offset:         0
        .size:           8
        .value_kind:     global_buffer
      - .address_space:  global
        .offset:         8
        .size:           8
        .value_kind:     global_buffer
      - .offset:         16
        .size:           4
        .value_kind:     by_value
    .group_segment_fixed_size: 2048
    .kernarg_segment_align: 8
    .kernarg_segment_size: 20
    .language:       OpenCL C
    .language_version:
      - 2
      - 0
    .max_flat_workgroup_size: 256
    .name:           _Z6kernelI13subtract_leftLj256ELj3ELb0EJPfS1_jEEvDpT3_
    .private_segment_fixed_size: 0
    .sgpr_count:     12
    .sgpr_spill_count: 0
    .symbol:         _Z6kernelI13subtract_leftLj256ELj3ELb0EJPfS1_jEEvDpT3_.kd
    .uniform_work_group_size: 1
    .uses_dynamic_stack: false
    .vgpr_count:     11
    .vgpr_spill_count: 0
    .wavefront_size: 64
  - .agpr_count:     0
    .args:
      - .address_space:  global
        .offset:         0
        .size:           8
        .value_kind:     global_buffer
      - .address_space:  global
        .offset:         8
        .size:           8
        .value_kind:     global_buffer
      - .offset:         16
        .size:           4
        .value_kind:     by_value
    .group_segment_fixed_size: 2048
    .kernarg_segment_align: 8
    .kernarg_segment_size: 20
    .language:       OpenCL C
    .language_version:
      - 2
      - 0
    .max_flat_workgroup_size: 256
    .name:           _Z6kernelI13subtract_leftLj256ELj4ELb0EJPfS1_jEEvDpT3_
    .private_segment_fixed_size: 0
    .sgpr_count:     12
    .sgpr_spill_count: 0
    .symbol:         _Z6kernelI13subtract_leftLj256ELj4ELb0EJPfS1_jEEvDpT3_.kd
    .uniform_work_group_size: 1
    .uses_dynamic_stack: false
    .vgpr_count:     16
    .vgpr_spill_count: 0
    .wavefront_size: 64
  - .agpr_count:     0
    .args:
      - .address_space:  global
        .offset:         0
        .size:           8
        .value_kind:     global_buffer
      - .address_space:  global
        .offset:         8
        .size:           8
        .value_kind:     global_buffer
      - .offset:         16
        .size:           4
        .value_kind:     by_value
    .group_segment_fixed_size: 2048
    .kernarg_segment_align: 8
    .kernarg_segment_size: 20
    .language:       OpenCL C
    .language_version:
      - 2
      - 0
    .max_flat_workgroup_size: 256
    .name:           _Z6kernelI13subtract_leftLj256ELj8ELb0EJPfS1_jEEvDpT3_
    .private_segment_fixed_size: 0
    .sgpr_count:     12
    .sgpr_spill_count: 0
    .symbol:         _Z6kernelI13subtract_leftLj256ELj8ELb0EJPfS1_jEEvDpT3_.kd
    .uniform_work_group_size: 1
    .uses_dynamic_stack: false
    .vgpr_count:     20
    .vgpr_spill_count: 0
    .wavefront_size: 64
  - .agpr_count:     0
    .args:
      - .address_space:  global
        .offset:         0
        .size:           8
        .value_kind:     global_buffer
      - .address_space:  global
        .offset:         8
        .size:           8
        .value_kind:     global_buffer
      - .offset:         16
        .size:           4
        .value_kind:     by_value
    .group_segment_fixed_size: 2048
    .kernarg_segment_align: 8
    .kernarg_segment_size: 20
    .language:       OpenCL C
    .language_version:
      - 2
      - 0
    .max_flat_workgroup_size: 256
    .name:           _Z6kernelI13subtract_leftLj256ELj16ELb0EJPfS1_jEEvDpT3_
    .private_segment_fixed_size: 0
    .sgpr_count:     12
    .sgpr_spill_count: 0
    .symbol:         _Z6kernelI13subtract_leftLj256ELj16ELb0EJPfS1_jEEvDpT3_.kd
    .uniform_work_group_size: 1
    .uses_dynamic_stack: false
    .vgpr_count:     36
    .vgpr_spill_count: 0
    .wavefront_size: 64
  - .agpr_count:     0
    .args:
      - .address_space:  global
        .offset:         0
        .size:           8
        .value_kind:     global_buffer
      - .address_space:  global
        .offset:         8
        .size:           8
        .value_kind:     global_buffer
      - .offset:         16
        .size:           4
        .value_kind:     by_value
    .group_segment_fixed_size: 2048
    .kernarg_segment_align: 8
    .kernarg_segment_size: 20
    .language:       OpenCL C
    .language_version:
      - 2
      - 0
    .max_flat_workgroup_size: 256
    .name:           _Z6kernelI13subtract_leftLj256ELj32ELb0EJPfS1_jEEvDpT3_
    .private_segment_fixed_size: 0
    .sgpr_count:     12
    .sgpr_spill_count: 0
    .symbol:         _Z6kernelI13subtract_leftLj256ELj32ELb0EJPfS1_jEEvDpT3_.kd
    .uniform_work_group_size: 1
    .uses_dynamic_stack: false
    .vgpr_count:     62
    .vgpr_spill_count: 0
    .wavefront_size: 64
  - .agpr_count:     0
    .args:
      - .address_space:  global
        .offset:         0
        .size:           8
        .value_kind:     global_buffer
      - .address_space:  global
        .offset:         8
        .size:           8
        .value_kind:     global_buffer
      - .offset:         16
        .size:           4
        .value_kind:     by_value
    .group_segment_fixed_size: 512
    .kernarg_segment_align: 8
    .kernarg_segment_size: 20
    .language:       OpenCL C
    .language_version:
      - 2
      - 0
    .max_flat_workgroup_size: 256
    .name:           _Z6kernelI13subtract_leftLj256ELj1ELb0EJPaS1_jEEvDpT3_
    .private_segment_fixed_size: 0
    .sgpr_count:     12
    .sgpr_spill_count: 0
    .symbol:         _Z6kernelI13subtract_leftLj256ELj1ELb0EJPaS1_jEEvDpT3_.kd
    .uniform_work_group_size: 1
    .uses_dynamic_stack: false
    .vgpr_count:     4
    .vgpr_spill_count: 0
    .wavefront_size: 64
  - .agpr_count:     0
    .args:
      - .address_space:  global
        .offset:         0
        .size:           8
        .value_kind:     global_buffer
      - .address_space:  global
        .offset:         8
        .size:           8
        .value_kind:     global_buffer
      - .offset:         16
        .size:           4
        .value_kind:     by_value
    .group_segment_fixed_size: 512
    .kernarg_segment_align: 8
    .kernarg_segment_size: 20
    .language:       OpenCL C
    .language_version:
      - 2
      - 0
    .max_flat_workgroup_size: 256
    .name:           _Z6kernelI13subtract_leftLj256ELj3ELb0EJPaS1_jEEvDpT3_
    .private_segment_fixed_size: 0
    .sgpr_count:     12
    .sgpr_spill_count: 0
    .symbol:         _Z6kernelI13subtract_leftLj256ELj3ELb0EJPaS1_jEEvDpT3_.kd
    .uniform_work_group_size: 1
    .uses_dynamic_stack: false
    .vgpr_count:     7
    .vgpr_spill_count: 0
    .wavefront_size: 64
  - .agpr_count:     0
    .args:
      - .address_space:  global
        .offset:         0
        .size:           8
        .value_kind:     global_buffer
      - .address_space:  global
        .offset:         8
        .size:           8
        .value_kind:     global_buffer
      - .offset:         16
        .size:           4
        .value_kind:     by_value
    .group_segment_fixed_size: 512
    .kernarg_segment_align: 8
    .kernarg_segment_size: 20
    .language:       OpenCL C
    .language_version:
      - 2
      - 0
    .max_flat_workgroup_size: 256
    .name:           _Z6kernelI13subtract_leftLj256ELj4ELb0EJPaS1_jEEvDpT3_
    .private_segment_fixed_size: 0
    .sgpr_count:     12
    .sgpr_spill_count: 0
    .symbol:         _Z6kernelI13subtract_leftLj256ELj4ELb0EJPaS1_jEEvDpT3_.kd
    .uniform_work_group_size: 1
    .uses_dynamic_stack: false
    .vgpr_count:     9
    .vgpr_spill_count: 0
    .wavefront_size: 64
  - .agpr_count:     0
    .args:
      - .address_space:  global
        .offset:         0
        .size:           8
        .value_kind:     global_buffer
      - .address_space:  global
        .offset:         8
        .size:           8
        .value_kind:     global_buffer
      - .offset:         16
        .size:           4
        .value_kind:     by_value
    .group_segment_fixed_size: 512
    .kernarg_segment_align: 8
    .kernarg_segment_size: 20
    .language:       OpenCL C
    .language_version:
      - 2
      - 0
    .max_flat_workgroup_size: 256
    .name:           _Z6kernelI13subtract_leftLj256ELj8ELb0EJPaS1_jEEvDpT3_
    .private_segment_fixed_size: 0
    .sgpr_count:     12
    .sgpr_spill_count: 0
    .symbol:         _Z6kernelI13subtract_leftLj256ELj8ELb0EJPaS1_jEEvDpT3_.kd
    .uniform_work_group_size: 1
    .uses_dynamic_stack: false
    .vgpr_count:     15
    .vgpr_spill_count: 0
    .wavefront_size: 64
  - .agpr_count:     0
    .args:
      - .address_space:  global
        .offset:         0
        .size:           8
        .value_kind:     global_buffer
      - .address_space:  global
        .offset:         8
        .size:           8
        .value_kind:     global_buffer
      - .offset:         16
        .size:           4
        .value_kind:     by_value
    .group_segment_fixed_size: 512
    .kernarg_segment_align: 8
    .kernarg_segment_size: 20
    .language:       OpenCL C
    .language_version:
      - 2
      - 0
    .max_flat_workgroup_size: 256
    .name:           _Z6kernelI13subtract_leftLj256ELj16ELb0EJPaS1_jEEvDpT3_
    .private_segment_fixed_size: 0
    .sgpr_count:     12
    .sgpr_spill_count: 0
    .symbol:         _Z6kernelI13subtract_leftLj256ELj16ELb0EJPaS1_jEEvDpT3_.kd
    .uniform_work_group_size: 1
    .uses_dynamic_stack: false
    .vgpr_count:     28
    .vgpr_spill_count: 0
    .wavefront_size: 64
  - .agpr_count:     0
    .args:
      - .address_space:  global
        .offset:         0
        .size:           8
        .value_kind:     global_buffer
      - .address_space:  global
        .offset:         8
        .size:           8
        .value_kind:     global_buffer
      - .offset:         16
        .size:           4
        .value_kind:     by_value
    .group_segment_fixed_size: 512
    .kernarg_segment_align: 8
    .kernarg_segment_size: 20
    .language:       OpenCL C
    .language_version:
      - 2
      - 0
    .max_flat_workgroup_size: 256
    .name:           _Z6kernelI13subtract_leftLj256ELj32ELb0EJPaS1_jEEvDpT3_
    .private_segment_fixed_size: 0
    .sgpr_count:     12
    .sgpr_spill_count: 0
    .symbol:         _Z6kernelI13subtract_leftLj256ELj32ELb0EJPaS1_jEEvDpT3_.kd
    .uniform_work_group_size: 1
    .uses_dynamic_stack: false
    .vgpr_count:     62
    .vgpr_spill_count: 0
    .wavefront_size: 64
  - .agpr_count:     0
    .args:
      - .address_space:  global
        .offset:         0
        .size:           8
        .value_kind:     global_buffer
      - .address_space:  global
        .offset:         8
        .size:           8
        .value_kind:     global_buffer
      - .offset:         16
        .size:           4
        .value_kind:     by_value
    .group_segment_fixed_size: 4096
    .kernarg_segment_align: 8
    .kernarg_segment_size: 20
    .language:       OpenCL C
    .language_version:
      - 2
      - 0
    .max_flat_workgroup_size: 256
    .name:           _Z6kernelI13subtract_leftLj256ELj1ELb0EJPxS1_jEEvDpT3_
    .private_segment_fixed_size: 0
    .sgpr_count:     13
    .sgpr_spill_count: 0
    .symbol:         _Z6kernelI13subtract_leftLj256ELj1ELb0EJPxS1_jEEvDpT3_.kd
    .uniform_work_group_size: 1
    .uses_dynamic_stack: false
    .vgpr_count:     6
    .vgpr_spill_count: 0
    .wavefront_size: 64
  - .agpr_count:     0
    .args:
      - .address_space:  global
        .offset:         0
        .size:           8
        .value_kind:     global_buffer
      - .address_space:  global
        .offset:         8
        .size:           8
        .value_kind:     global_buffer
      - .offset:         16
        .size:           4
        .value_kind:     by_value
    .group_segment_fixed_size: 4096
    .kernarg_segment_align: 8
    .kernarg_segment_size: 20
    .language:       OpenCL C
    .language_version:
      - 2
      - 0
    .max_flat_workgroup_size: 256
    .name:           _Z6kernelI13subtract_leftLj256ELj3ELb0EJPxS1_jEEvDpT3_
    .private_segment_fixed_size: 0
    .sgpr_count:     13
    .sgpr_spill_count: 0
    .symbol:         _Z6kernelI13subtract_leftLj256ELj3ELb0EJPxS1_jEEvDpT3_.kd
    .uniform_work_group_size: 1
    .uses_dynamic_stack: false
    .vgpr_count:     12
    .vgpr_spill_count: 0
    .wavefront_size: 64
  - .agpr_count:     0
    .args:
      - .address_space:  global
        .offset:         0
        .size:           8
        .value_kind:     global_buffer
      - .address_space:  global
        .offset:         8
        .size:           8
        .value_kind:     global_buffer
      - .offset:         16
        .size:           4
        .value_kind:     by_value
    .group_segment_fixed_size: 4096
    .kernarg_segment_align: 8
    .kernarg_segment_size: 20
    .language:       OpenCL C
    .language_version:
      - 2
      - 0
    .max_flat_workgroup_size: 256
    .name:           _Z6kernelI13subtract_leftLj256ELj4ELb0EJPxS1_jEEvDpT3_
    .private_segment_fixed_size: 0
    .sgpr_count:     13
    .sgpr_spill_count: 0
    .symbol:         _Z6kernelI13subtract_leftLj256ELj4ELb0EJPxS1_jEEvDpT3_.kd
    .uniform_work_group_size: 1
    .uses_dynamic_stack: false
    .vgpr_count:     16
    .vgpr_spill_count: 0
    .wavefront_size: 64
  - .agpr_count:     0
    .args:
      - .address_space:  global
        .offset:         0
        .size:           8
        .value_kind:     global_buffer
      - .address_space:  global
        .offset:         8
        .size:           8
        .value_kind:     global_buffer
      - .offset:         16
        .size:           4
        .value_kind:     by_value
    .group_segment_fixed_size: 4096
    .kernarg_segment_align: 8
    .kernarg_segment_size: 20
    .language:       OpenCL C
    .language_version:
      - 2
      - 0
    .max_flat_workgroup_size: 256
    .name:           _Z6kernelI13subtract_leftLj256ELj8ELb0EJPxS1_jEEvDpT3_
    .private_segment_fixed_size: 0
    .sgpr_count:     13
    .sgpr_spill_count: 0
    .symbol:         _Z6kernelI13subtract_leftLj256ELj8ELb0EJPxS1_jEEvDpT3_.kd
    .uniform_work_group_size: 1
    .uses_dynamic_stack: false
    .vgpr_count:     34
    .vgpr_spill_count: 0
    .wavefront_size: 64
  - .agpr_count:     0
    .args:
      - .address_space:  global
        .offset:         0
        .size:           8
        .value_kind:     global_buffer
      - .address_space:  global
        .offset:         8
        .size:           8
        .value_kind:     global_buffer
      - .offset:         16
        .size:           4
        .value_kind:     by_value
    .group_segment_fixed_size: 4096
    .kernarg_segment_align: 8
    .kernarg_segment_size: 20
    .language:       OpenCL C
    .language_version:
      - 2
      - 0
    .max_flat_workgroup_size: 256
    .name:           _Z6kernelI13subtract_leftLj256ELj16ELb0EJPxS1_jEEvDpT3_
    .private_segment_fixed_size: 0
    .sgpr_count:     13
    .sgpr_spill_count: 0
    .symbol:         _Z6kernelI13subtract_leftLj256ELj16ELb0EJPxS1_jEEvDpT3_.kd
    .uniform_work_group_size: 1
    .uses_dynamic_stack: false
    .vgpr_count:     62
    .vgpr_spill_count: 0
    .wavefront_size: 64
  - .agpr_count:     0
    .args:
      - .address_space:  global
        .offset:         0
        .size:           8
        .value_kind:     global_buffer
      - .address_space:  global
        .offset:         8
        .size:           8
        .value_kind:     global_buffer
      - .offset:         16
        .size:           4
        .value_kind:     by_value
    .group_segment_fixed_size: 4096
    .kernarg_segment_align: 8
    .kernarg_segment_size: 20
    .language:       OpenCL C
    .language_version:
      - 2
      - 0
    .max_flat_workgroup_size: 256
    .name:           _Z6kernelI13subtract_leftLj256ELj32ELb0EJPxS1_jEEvDpT3_
    .private_segment_fixed_size: 0
    .sgpr_count:     13
    .sgpr_spill_count: 0
    .symbol:         _Z6kernelI13subtract_leftLj256ELj32ELb0EJPxS1_jEEvDpT3_.kd
    .uniform_work_group_size: 1
    .uses_dynamic_stack: false
    .vgpr_count:     80
    .vgpr_spill_count: 0
    .wavefront_size: 64
  - .agpr_count:     0
    .args:
      - .address_space:  global
        .offset:         0
        .size:           8
        .value_kind:     global_buffer
      - .address_space:  global
        .offset:         8
        .size:           8
        .value_kind:     global_buffer
      - .offset:         16
        .size:           4
        .value_kind:     by_value
    .group_segment_fixed_size: 4096
    .kernarg_segment_align: 8
    .kernarg_segment_size: 20
    .language:       OpenCL C
    .language_version:
      - 2
      - 0
    .max_flat_workgroup_size: 256
    .name:           _Z6kernelI13subtract_leftLj256ELj1ELb0EJPdS1_jEEvDpT3_
    .private_segment_fixed_size: 0
    .sgpr_count:     12
    .sgpr_spill_count: 0
    .symbol:         _Z6kernelI13subtract_leftLj256ELj1ELb0EJPdS1_jEEvDpT3_.kd
    .uniform_work_group_size: 1
    .uses_dynamic_stack: false
    .vgpr_count:     6
    .vgpr_spill_count: 0
    .wavefront_size: 64
  - .agpr_count:     0
    .args:
      - .address_space:  global
        .offset:         0
        .size:           8
        .value_kind:     global_buffer
      - .address_space:  global
        .offset:         8
        .size:           8
        .value_kind:     global_buffer
      - .offset:         16
        .size:           4
        .value_kind:     by_value
    .group_segment_fixed_size: 4096
    .kernarg_segment_align: 8
    .kernarg_segment_size: 20
    .language:       OpenCL C
    .language_version:
      - 2
      - 0
    .max_flat_workgroup_size: 256
    .name:           _Z6kernelI13subtract_leftLj256ELj3ELb0EJPdS1_jEEvDpT3_
    .private_segment_fixed_size: 0
    .sgpr_count:     12
    .sgpr_spill_count: 0
    .symbol:         _Z6kernelI13subtract_leftLj256ELj3ELb0EJPdS1_jEEvDpT3_.kd
    .uniform_work_group_size: 1
    .uses_dynamic_stack: false
    .vgpr_count:     14
    .vgpr_spill_count: 0
    .wavefront_size: 64
  - .agpr_count:     0
    .args:
      - .address_space:  global
        .offset:         0
        .size:           8
        .value_kind:     global_buffer
      - .address_space:  global
        .offset:         8
        .size:           8
        .value_kind:     global_buffer
      - .offset:         16
        .size:           4
        .value_kind:     by_value
    .group_segment_fixed_size: 4096
    .kernarg_segment_align: 8
    .kernarg_segment_size: 20
    .language:       OpenCL C
    .language_version:
      - 2
      - 0
    .max_flat_workgroup_size: 256
    .name:           _Z6kernelI13subtract_leftLj256ELj4ELb0EJPdS1_jEEvDpT3_
    .private_segment_fixed_size: 0
    .sgpr_count:     12
    .sgpr_spill_count: 0
    .symbol:         _Z6kernelI13subtract_leftLj256ELj4ELb0EJPdS1_jEEvDpT3_.kd
    .uniform_work_group_size: 1
    .uses_dynamic_stack: false
    .vgpr_count:     18
    .vgpr_spill_count: 0
    .wavefront_size: 64
  - .agpr_count:     0
    .args:
      - .address_space:  global
        .offset:         0
        .size:           8
        .value_kind:     global_buffer
      - .address_space:  global
        .offset:         8
        .size:           8
        .value_kind:     global_buffer
      - .offset:         16
        .size:           4
        .value_kind:     by_value
    .group_segment_fixed_size: 4096
    .kernarg_segment_align: 8
    .kernarg_segment_size: 20
    .language:       OpenCL C
    .language_version:
      - 2
      - 0
    .max_flat_workgroup_size: 256
    .name:           _Z6kernelI13subtract_leftLj256ELj8ELb0EJPdS1_jEEvDpT3_
    .private_segment_fixed_size: 0
    .sgpr_count:     12
    .sgpr_spill_count: 0
    .symbol:         _Z6kernelI13subtract_leftLj256ELj8ELb0EJPdS1_jEEvDpT3_.kd
    .uniform_work_group_size: 1
    .uses_dynamic_stack: false
    .vgpr_count:     34
    .vgpr_spill_count: 0
    .wavefront_size: 64
  - .agpr_count:     0
    .args:
      - .address_space:  global
        .offset:         0
        .size:           8
        .value_kind:     global_buffer
      - .address_space:  global
        .offset:         8
        .size:           8
        .value_kind:     global_buffer
      - .offset:         16
        .size:           4
        .value_kind:     by_value
    .group_segment_fixed_size: 4096
    .kernarg_segment_align: 8
    .kernarg_segment_size: 20
    .language:       OpenCL C
    .language_version:
      - 2
      - 0
    .max_flat_workgroup_size: 256
    .name:           _Z6kernelI13subtract_leftLj256ELj16ELb0EJPdS1_jEEvDpT3_
    .private_segment_fixed_size: 0
    .sgpr_count:     12
    .sgpr_spill_count: 0
    .symbol:         _Z6kernelI13subtract_leftLj256ELj16ELb0EJPdS1_jEEvDpT3_.kd
    .uniform_work_group_size: 1
    .uses_dynamic_stack: false
    .vgpr_count:     62
    .vgpr_spill_count: 0
    .wavefront_size: 64
  - .agpr_count:     0
    .args:
      - .address_space:  global
        .offset:         0
        .size:           8
        .value_kind:     global_buffer
      - .address_space:  global
        .offset:         8
        .size:           8
        .value_kind:     global_buffer
      - .offset:         16
        .size:           4
        .value_kind:     by_value
    .group_segment_fixed_size: 4096
    .kernarg_segment_align: 8
    .kernarg_segment_size: 20
    .language:       OpenCL C
    .language_version:
      - 2
      - 0
    .max_flat_workgroup_size: 256
    .name:           _Z6kernelI13subtract_leftLj256ELj32ELb0EJPdS1_jEEvDpT3_
    .private_segment_fixed_size: 0
    .sgpr_count:     12
    .sgpr_spill_count: 0
    .symbol:         _Z6kernelI13subtract_leftLj256ELj32ELb0EJPdS1_jEEvDpT3_.kd
    .uniform_work_group_size: 1
    .uses_dynamic_stack: false
    .vgpr_count:     80
    .vgpr_spill_count: 0
    .wavefront_size: 64
  - .agpr_count:     0
    .args:
      - .address_space:  global
        .offset:         0
        .size:           8
        .value_kind:     global_buffer
      - .address_space:  global
        .offset:         8
        .size:           8
        .value_kind:     global_buffer
      - .offset:         16
        .size:           4
        .value_kind:     by_value
    .group_segment_fixed_size: 2048
    .kernarg_segment_align: 8
    .kernarg_segment_size: 20
    .language:       OpenCL C
    .language_version:
      - 2
      - 0
    .max_flat_workgroup_size: 256
    .name:           _Z6kernelI13subtract_leftLj256ELj1ELb1EJPiS1_jEEvDpT3_
    .private_segment_fixed_size: 0
    .sgpr_count:     12
    .sgpr_spill_count: 0
    .symbol:         _Z6kernelI13subtract_leftLj256ELj1ELb1EJPiS1_jEEvDpT3_.kd
    .uniform_work_group_size: 1
    .uses_dynamic_stack: false
    .vgpr_count:     4
    .vgpr_spill_count: 0
    .wavefront_size: 64
  - .agpr_count:     0
    .args:
      - .address_space:  global
        .offset:         0
        .size:           8
        .value_kind:     global_buffer
      - .address_space:  global
        .offset:         8
        .size:           8
        .value_kind:     global_buffer
      - .offset:         16
        .size:           4
        .value_kind:     by_value
    .group_segment_fixed_size: 2048
    .kernarg_segment_align: 8
    .kernarg_segment_size: 20
    .language:       OpenCL C
    .language_version:
      - 2
      - 0
    .max_flat_workgroup_size: 256
    .name:           _Z6kernelI13subtract_leftLj256ELj3ELb1EJPiS1_jEEvDpT3_
    .private_segment_fixed_size: 0
    .sgpr_count:     12
    .sgpr_spill_count: 0
    .symbol:         _Z6kernelI13subtract_leftLj256ELj3ELb1EJPiS1_jEEvDpT3_.kd
    .uniform_work_group_size: 1
    .uses_dynamic_stack: false
    .vgpr_count:     7
    .vgpr_spill_count: 0
    .wavefront_size: 64
  - .agpr_count:     0
    .args:
      - .address_space:  global
        .offset:         0
        .size:           8
        .value_kind:     global_buffer
      - .address_space:  global
        .offset:         8
        .size:           8
        .value_kind:     global_buffer
      - .offset:         16
        .size:           4
        .value_kind:     by_value
    .group_segment_fixed_size: 2048
    .kernarg_segment_align: 8
    .kernarg_segment_size: 20
    .language:       OpenCL C
    .language_version:
      - 2
      - 0
    .max_flat_workgroup_size: 256
    .name:           _Z6kernelI13subtract_leftLj256ELj4ELb1EJPiS1_jEEvDpT3_
    .private_segment_fixed_size: 0
    .sgpr_count:     12
    .sgpr_spill_count: 0
    .symbol:         _Z6kernelI13subtract_leftLj256ELj4ELb1EJPiS1_jEEvDpT3_.kd
    .uniform_work_group_size: 1
    .uses_dynamic_stack: false
    .vgpr_count:     9
    .vgpr_spill_count: 0
    .wavefront_size: 64
  - .agpr_count:     0
    .args:
      - .address_space:  global
        .offset:         0
        .size:           8
        .value_kind:     global_buffer
      - .address_space:  global
        .offset:         8
        .size:           8
        .value_kind:     global_buffer
      - .offset:         16
        .size:           4
        .value_kind:     by_value
    .group_segment_fixed_size: 2048
    .kernarg_segment_align: 8
    .kernarg_segment_size: 20
    .language:       OpenCL C
    .language_version:
      - 2
      - 0
    .max_flat_workgroup_size: 256
    .name:           _Z6kernelI13subtract_leftLj256ELj8ELb1EJPiS1_jEEvDpT3_
    .private_segment_fixed_size: 0
    .sgpr_count:     12
    .sgpr_spill_count: 0
    .symbol:         _Z6kernelI13subtract_leftLj256ELj8ELb1EJPiS1_jEEvDpT3_.kd
    .uniform_work_group_size: 1
    .uses_dynamic_stack: false
    .vgpr_count:     17
    .vgpr_spill_count: 0
    .wavefront_size: 64
  - .agpr_count:     0
    .args:
      - .address_space:  global
        .offset:         0
        .size:           8
        .value_kind:     global_buffer
      - .address_space:  global
        .offset:         8
        .size:           8
        .value_kind:     global_buffer
      - .offset:         16
        .size:           4
        .value_kind:     by_value
    .group_segment_fixed_size: 2048
    .kernarg_segment_align: 8
    .kernarg_segment_size: 20
    .language:       OpenCL C
    .language_version:
      - 2
      - 0
    .max_flat_workgroup_size: 256
    .name:           _Z6kernelI13subtract_leftLj256ELj16ELb1EJPiS1_jEEvDpT3_
    .private_segment_fixed_size: 0
    .sgpr_count:     12
    .sgpr_spill_count: 0
    .symbol:         _Z6kernelI13subtract_leftLj256ELj16ELb1EJPiS1_jEEvDpT3_.kd
    .uniform_work_group_size: 1
    .uses_dynamic_stack: false
    .vgpr_count:     34
    .vgpr_spill_count: 0
    .wavefront_size: 64
  - .agpr_count:     0
    .args:
      - .address_space:  global
        .offset:         0
        .size:           8
        .value_kind:     global_buffer
      - .address_space:  global
        .offset:         8
        .size:           8
        .value_kind:     global_buffer
      - .offset:         16
        .size:           4
        .value_kind:     by_value
    .group_segment_fixed_size: 2048
    .kernarg_segment_align: 8
    .kernarg_segment_size: 20
    .language:       OpenCL C
    .language_version:
      - 2
      - 0
    .max_flat_workgroup_size: 256
    .name:           _Z6kernelI13subtract_leftLj256ELj32ELb1EJPiS1_jEEvDpT3_
    .private_segment_fixed_size: 0
    .sgpr_count:     12
    .sgpr_spill_count: 0
    .symbol:         _Z6kernelI13subtract_leftLj256ELj32ELb1EJPiS1_jEEvDpT3_.kd
    .uniform_work_group_size: 1
    .uses_dynamic_stack: false
    .vgpr_count:     62
    .vgpr_spill_count: 0
    .wavefront_size: 64
  - .agpr_count:     0
    .args:
      - .address_space:  global
        .offset:         0
        .size:           8
        .value_kind:     global_buffer
      - .address_space:  global
        .offset:         8
        .size:           8
        .value_kind:     global_buffer
      - .offset:         16
        .size:           4
        .value_kind:     by_value
    .group_segment_fixed_size: 2048
    .kernarg_segment_align: 8
    .kernarg_segment_size: 20
    .language:       OpenCL C
    .language_version:
      - 2
      - 0
    .max_flat_workgroup_size: 256
    .name:           _Z6kernelI13subtract_leftLj256ELj1ELb1EJPfS1_jEEvDpT3_
    .private_segment_fixed_size: 0
    .sgpr_count:     12
    .sgpr_spill_count: 0
    .symbol:         _Z6kernelI13subtract_leftLj256ELj1ELb1EJPfS1_jEEvDpT3_.kd
    .uniform_work_group_size: 1
    .uses_dynamic_stack: false
    .vgpr_count:     4
    .vgpr_spill_count: 0
    .wavefront_size: 64
  - .agpr_count:     0
    .args:
      - .address_space:  global
        .offset:         0
        .size:           8
        .value_kind:     global_buffer
      - .address_space:  global
        .offset:         8
        .size:           8
        .value_kind:     global_buffer
      - .offset:         16
        .size:           4
        .value_kind:     by_value
    .group_segment_fixed_size: 2048
    .kernarg_segment_align: 8
    .kernarg_segment_size: 20
    .language:       OpenCL C
    .language_version:
      - 2
      - 0
    .max_flat_workgroup_size: 256
    .name:           _Z6kernelI13subtract_leftLj256ELj3ELb1EJPfS1_jEEvDpT3_
    .private_segment_fixed_size: 0
    .sgpr_count:     12
    .sgpr_spill_count: 0
    .symbol:         _Z6kernelI13subtract_leftLj256ELj3ELb1EJPfS1_jEEvDpT3_.kd
    .uniform_work_group_size: 1
    .uses_dynamic_stack: false
    .vgpr_count:     9
    .vgpr_spill_count: 0
    .wavefront_size: 64
  - .agpr_count:     0
    .args:
      - .address_space:  global
        .offset:         0
        .size:           8
        .value_kind:     global_buffer
      - .address_space:  global
        .offset:         8
        .size:           8
        .value_kind:     global_buffer
      - .offset:         16
        .size:           4
        .value_kind:     by_value
    .group_segment_fixed_size: 2048
    .kernarg_segment_align: 8
    .kernarg_segment_size: 20
    .language:       OpenCL C
    .language_version:
      - 2
      - 0
    .max_flat_workgroup_size: 256
    .name:           _Z6kernelI13subtract_leftLj256ELj4ELb1EJPfS1_jEEvDpT3_
    .private_segment_fixed_size: 0
    .sgpr_count:     12
    .sgpr_spill_count: 0
    .symbol:         _Z6kernelI13subtract_leftLj256ELj4ELb1EJPfS1_jEEvDpT3_.kd
    .uniform_work_group_size: 1
    .uses_dynamic_stack: false
    .vgpr_count:     12
    .vgpr_spill_count: 0
    .wavefront_size: 64
  - .agpr_count:     0
    .args:
      - .address_space:  global
        .offset:         0
        .size:           8
        .value_kind:     global_buffer
      - .address_space:  global
        .offset:         8
        .size:           8
        .value_kind:     global_buffer
      - .offset:         16
        .size:           4
        .value_kind:     by_value
    .group_segment_fixed_size: 2048
    .kernarg_segment_align: 8
    .kernarg_segment_size: 20
    .language:       OpenCL C
    .language_version:
      - 2
      - 0
    .max_flat_workgroup_size: 256
    .name:           _Z6kernelI13subtract_leftLj256ELj8ELb1EJPfS1_jEEvDpT3_
    .private_segment_fixed_size: 0
    .sgpr_count:     12
    .sgpr_spill_count: 0
    .symbol:         _Z6kernelI13subtract_leftLj256ELj8ELb1EJPfS1_jEEvDpT3_.kd
    .uniform_work_group_size: 1
    .uses_dynamic_stack: false
    .vgpr_count:     20
    .vgpr_spill_count: 0
    .wavefront_size: 64
  - .agpr_count:     0
    .args:
      - .address_space:  global
        .offset:         0
        .size:           8
        .value_kind:     global_buffer
      - .address_space:  global
        .offset:         8
        .size:           8
        .value_kind:     global_buffer
      - .offset:         16
        .size:           4
        .value_kind:     by_value
    .group_segment_fixed_size: 2048
    .kernarg_segment_align: 8
    .kernarg_segment_size: 20
    .language:       OpenCL C
    .language_version:
      - 2
      - 0
    .max_flat_workgroup_size: 256
    .name:           _Z6kernelI13subtract_leftLj256ELj16ELb1EJPfS1_jEEvDpT3_
    .private_segment_fixed_size: 0
    .sgpr_count:     12
    .sgpr_spill_count: 0
    .symbol:         _Z6kernelI13subtract_leftLj256ELj16ELb1EJPfS1_jEEvDpT3_.kd
    .uniform_work_group_size: 1
    .uses_dynamic_stack: false
    .vgpr_count:     36
    .vgpr_spill_count: 0
    .wavefront_size: 64
  - .agpr_count:     0
    .args:
      - .address_space:  global
        .offset:         0
        .size:           8
        .value_kind:     global_buffer
      - .address_space:  global
        .offset:         8
        .size:           8
        .value_kind:     global_buffer
      - .offset:         16
        .size:           4
        .value_kind:     by_value
    .group_segment_fixed_size: 2048
    .kernarg_segment_align: 8
    .kernarg_segment_size: 20
    .language:       OpenCL C
    .language_version:
      - 2
      - 0
    .max_flat_workgroup_size: 256
    .name:           _Z6kernelI13subtract_leftLj256ELj32ELb1EJPfS1_jEEvDpT3_
    .private_segment_fixed_size: 0
    .sgpr_count:     12
    .sgpr_spill_count: 0
    .symbol:         _Z6kernelI13subtract_leftLj256ELj32ELb1EJPfS1_jEEvDpT3_.kd
    .uniform_work_group_size: 1
    .uses_dynamic_stack: false
    .vgpr_count:     62
    .vgpr_spill_count: 0
    .wavefront_size: 64
  - .agpr_count:     0
    .args:
      - .address_space:  global
        .offset:         0
        .size:           8
        .value_kind:     global_buffer
      - .address_space:  global
        .offset:         8
        .size:           8
        .value_kind:     global_buffer
      - .offset:         16
        .size:           4
        .value_kind:     by_value
    .group_segment_fixed_size: 512
    .kernarg_segment_align: 8
    .kernarg_segment_size: 20
    .language:       OpenCL C
    .language_version:
      - 2
      - 0
    .max_flat_workgroup_size: 256
    .name:           _Z6kernelI13subtract_leftLj256ELj1ELb1EJPaS1_jEEvDpT3_
    .private_segment_fixed_size: 0
    .sgpr_count:     12
    .sgpr_spill_count: 0
    .symbol:         _Z6kernelI13subtract_leftLj256ELj1ELb1EJPaS1_jEEvDpT3_.kd
    .uniform_work_group_size: 1
    .uses_dynamic_stack: false
    .vgpr_count:     4
    .vgpr_spill_count: 0
    .wavefront_size: 64
  - .agpr_count:     0
    .args:
      - .address_space:  global
        .offset:         0
        .size:           8
        .value_kind:     global_buffer
      - .address_space:  global
        .offset:         8
        .size:           8
        .value_kind:     global_buffer
      - .offset:         16
        .size:           4
        .value_kind:     by_value
    .group_segment_fixed_size: 512
    .kernarg_segment_align: 8
    .kernarg_segment_size: 20
    .language:       OpenCL C
    .language_version:
      - 2
      - 0
    .max_flat_workgroup_size: 256
    .name:           _Z6kernelI13subtract_leftLj256ELj3ELb1EJPaS1_jEEvDpT3_
    .private_segment_fixed_size: 0
    .sgpr_count:     12
    .sgpr_spill_count: 0
    .symbol:         _Z6kernelI13subtract_leftLj256ELj3ELb1EJPaS1_jEEvDpT3_.kd
    .uniform_work_group_size: 1
    .uses_dynamic_stack: false
    .vgpr_count:     7
    .vgpr_spill_count: 0
    .wavefront_size: 64
  - .agpr_count:     0
    .args:
      - .address_space:  global
        .offset:         0
        .size:           8
        .value_kind:     global_buffer
      - .address_space:  global
        .offset:         8
        .size:           8
        .value_kind:     global_buffer
      - .offset:         16
        .size:           4
        .value_kind:     by_value
    .group_segment_fixed_size: 512
    .kernarg_segment_align: 8
    .kernarg_segment_size: 20
    .language:       OpenCL C
    .language_version:
      - 2
      - 0
    .max_flat_workgroup_size: 256
    .name:           _Z6kernelI13subtract_leftLj256ELj4ELb1EJPaS1_jEEvDpT3_
    .private_segment_fixed_size: 0
    .sgpr_count:     12
    .sgpr_spill_count: 0
    .symbol:         _Z6kernelI13subtract_leftLj256ELj4ELb1EJPaS1_jEEvDpT3_.kd
    .uniform_work_group_size: 1
    .uses_dynamic_stack: false
    .vgpr_count:     9
    .vgpr_spill_count: 0
    .wavefront_size: 64
  - .agpr_count:     0
    .args:
      - .address_space:  global
        .offset:         0
        .size:           8
        .value_kind:     global_buffer
      - .address_space:  global
        .offset:         8
        .size:           8
        .value_kind:     global_buffer
      - .offset:         16
        .size:           4
        .value_kind:     by_value
    .group_segment_fixed_size: 512
    .kernarg_segment_align: 8
    .kernarg_segment_size: 20
    .language:       OpenCL C
    .language_version:
      - 2
      - 0
    .max_flat_workgroup_size: 256
    .name:           _Z6kernelI13subtract_leftLj256ELj8ELb1EJPaS1_jEEvDpT3_
    .private_segment_fixed_size: 0
    .sgpr_count:     12
    .sgpr_spill_count: 0
    .symbol:         _Z6kernelI13subtract_leftLj256ELj8ELb1EJPaS1_jEEvDpT3_.kd
    .uniform_work_group_size: 1
    .uses_dynamic_stack: false
    .vgpr_count:     13
    .vgpr_spill_count: 0
    .wavefront_size: 64
  - .agpr_count:     0
    .args:
      - .address_space:  global
        .offset:         0
        .size:           8
        .value_kind:     global_buffer
      - .address_space:  global
        .offset:         8
        .size:           8
        .value_kind:     global_buffer
      - .offset:         16
        .size:           4
        .value_kind:     by_value
    .group_segment_fixed_size: 512
    .kernarg_segment_align: 8
    .kernarg_segment_size: 20
    .language:       OpenCL C
    .language_version:
      - 2
      - 0
    .max_flat_workgroup_size: 256
    .name:           _Z6kernelI13subtract_leftLj256ELj16ELb1EJPaS1_jEEvDpT3_
    .private_segment_fixed_size: 0
    .sgpr_count:     12
    .sgpr_spill_count: 0
    .symbol:         _Z6kernelI13subtract_leftLj256ELj16ELb1EJPaS1_jEEvDpT3_.kd
    .uniform_work_group_size: 1
    .uses_dynamic_stack: false
    .vgpr_count:     21
    .vgpr_spill_count: 0
    .wavefront_size: 64
  - .agpr_count:     0
    .args:
      - .address_space:  global
        .offset:         0
        .size:           8
        .value_kind:     global_buffer
      - .address_space:  global
        .offset:         8
        .size:           8
        .value_kind:     global_buffer
      - .offset:         16
        .size:           4
        .value_kind:     by_value
    .group_segment_fixed_size: 512
    .kernarg_segment_align: 8
    .kernarg_segment_size: 20
    .language:       OpenCL C
    .language_version:
      - 2
      - 0
    .max_flat_workgroup_size: 256
    .name:           _Z6kernelI13subtract_leftLj256ELj32ELb1EJPaS1_jEEvDpT3_
    .private_segment_fixed_size: 0
    .sgpr_count:     12
    .sgpr_spill_count: 0
    .symbol:         _Z6kernelI13subtract_leftLj256ELj32ELb1EJPaS1_jEEvDpT3_.kd
    .uniform_work_group_size: 1
    .uses_dynamic_stack: false
    .vgpr_count:     62
    .vgpr_spill_count: 0
    .wavefront_size: 64
  - .agpr_count:     0
    .args:
      - .address_space:  global
        .offset:         0
        .size:           8
        .value_kind:     global_buffer
      - .address_space:  global
        .offset:         8
        .size:           8
        .value_kind:     global_buffer
      - .offset:         16
        .size:           4
        .value_kind:     by_value
    .group_segment_fixed_size: 4096
    .kernarg_segment_align: 8
    .kernarg_segment_size: 20
    .language:       OpenCL C
    .language_version:
      - 2
      - 0
    .max_flat_workgroup_size: 256
    .name:           _Z6kernelI13subtract_leftLj256ELj1ELb1EJPxS1_jEEvDpT3_
    .private_segment_fixed_size: 0
    .sgpr_count:     12
    .sgpr_spill_count: 0
    .symbol:         _Z6kernelI13subtract_leftLj256ELj1ELb1EJPxS1_jEEvDpT3_.kd
    .uniform_work_group_size: 1
    .uses_dynamic_stack: false
    .vgpr_count:     6
    .vgpr_spill_count: 0
    .wavefront_size: 64
  - .agpr_count:     0
    .args:
      - .address_space:  global
        .offset:         0
        .size:           8
        .value_kind:     global_buffer
      - .address_space:  global
        .offset:         8
        .size:           8
        .value_kind:     global_buffer
      - .offset:         16
        .size:           4
        .value_kind:     by_value
    .group_segment_fixed_size: 4096
    .kernarg_segment_align: 8
    .kernarg_segment_size: 20
    .language:       OpenCL C
    .language_version:
      - 2
      - 0
    .max_flat_workgroup_size: 256
    .name:           _Z6kernelI13subtract_leftLj256ELj3ELb1EJPxS1_jEEvDpT3_
    .private_segment_fixed_size: 0
    .sgpr_count:     12
    .sgpr_spill_count: 0
    .symbol:         _Z6kernelI13subtract_leftLj256ELj3ELb1EJPxS1_jEEvDpT3_.kd
    .uniform_work_group_size: 1
    .uses_dynamic_stack: false
    .vgpr_count:     12
    .vgpr_spill_count: 0
    .wavefront_size: 64
  - .agpr_count:     0
    .args:
      - .address_space:  global
        .offset:         0
        .size:           8
        .value_kind:     global_buffer
      - .address_space:  global
        .offset:         8
        .size:           8
        .value_kind:     global_buffer
      - .offset:         16
        .size:           4
        .value_kind:     by_value
    .group_segment_fixed_size: 4096
    .kernarg_segment_align: 8
    .kernarg_segment_size: 20
    .language:       OpenCL C
    .language_version:
      - 2
      - 0
    .max_flat_workgroup_size: 256
    .name:           _Z6kernelI13subtract_leftLj256ELj4ELb1EJPxS1_jEEvDpT3_
    .private_segment_fixed_size: 0
    .sgpr_count:     12
    .sgpr_spill_count: 0
    .symbol:         _Z6kernelI13subtract_leftLj256ELj4ELb1EJPxS1_jEEvDpT3_.kd
    .uniform_work_group_size: 1
    .uses_dynamic_stack: false
    .vgpr_count:     16
    .vgpr_spill_count: 0
    .wavefront_size: 64
  - .agpr_count:     0
    .args:
      - .address_space:  global
        .offset:         0
        .size:           8
        .value_kind:     global_buffer
      - .address_space:  global
        .offset:         8
        .size:           8
        .value_kind:     global_buffer
      - .offset:         16
        .size:           4
        .value_kind:     by_value
    .group_segment_fixed_size: 4096
    .kernarg_segment_align: 8
    .kernarg_segment_size: 20
    .language:       OpenCL C
    .language_version:
      - 2
      - 0
    .max_flat_workgroup_size: 256
    .name:           _Z6kernelI13subtract_leftLj256ELj8ELb1EJPxS1_jEEvDpT3_
    .private_segment_fixed_size: 0
    .sgpr_count:     12
    .sgpr_spill_count: 0
    .symbol:         _Z6kernelI13subtract_leftLj256ELj8ELb1EJPxS1_jEEvDpT3_.kd
    .uniform_work_group_size: 1
    .uses_dynamic_stack: false
    .vgpr_count:     34
    .vgpr_spill_count: 0
    .wavefront_size: 64
  - .agpr_count:     0
    .args:
      - .address_space:  global
        .offset:         0
        .size:           8
        .value_kind:     global_buffer
      - .address_space:  global
        .offset:         8
        .size:           8
        .value_kind:     global_buffer
      - .offset:         16
        .size:           4
        .value_kind:     by_value
    .group_segment_fixed_size: 4096
    .kernarg_segment_align: 8
    .kernarg_segment_size: 20
    .language:       OpenCL C
    .language_version:
      - 2
      - 0
    .max_flat_workgroup_size: 256
    .name:           _Z6kernelI13subtract_leftLj256ELj16ELb1EJPxS1_jEEvDpT3_
    .private_segment_fixed_size: 0
    .sgpr_count:     12
    .sgpr_spill_count: 0
    .symbol:         _Z6kernelI13subtract_leftLj256ELj16ELb1EJPxS1_jEEvDpT3_.kd
    .uniform_work_group_size: 1
    .uses_dynamic_stack: false
    .vgpr_count:     62
    .vgpr_spill_count: 0
    .wavefront_size: 64
  - .agpr_count:     0
    .args:
      - .address_space:  global
        .offset:         0
        .size:           8
        .value_kind:     global_buffer
      - .address_space:  global
        .offset:         8
        .size:           8
        .value_kind:     global_buffer
      - .offset:         16
        .size:           4
        .value_kind:     by_value
    .group_segment_fixed_size: 4096
    .kernarg_segment_align: 8
    .kernarg_segment_size: 20
    .language:       OpenCL C
    .language_version:
      - 2
      - 0
    .max_flat_workgroup_size: 256
    .name:           _Z6kernelI13subtract_leftLj256ELj32ELb1EJPxS1_jEEvDpT3_
    .private_segment_fixed_size: 0
    .sgpr_count:     12
    .sgpr_spill_count: 0
    .symbol:         _Z6kernelI13subtract_leftLj256ELj32ELb1EJPxS1_jEEvDpT3_.kd
    .uniform_work_group_size: 1
    .uses_dynamic_stack: false
    .vgpr_count:     80
    .vgpr_spill_count: 0
    .wavefront_size: 64
  - .agpr_count:     0
    .args:
      - .address_space:  global
        .offset:         0
        .size:           8
        .value_kind:     global_buffer
      - .address_space:  global
        .offset:         8
        .size:           8
        .value_kind:     global_buffer
      - .offset:         16
        .size:           4
        .value_kind:     by_value
    .group_segment_fixed_size: 4096
    .kernarg_segment_align: 8
    .kernarg_segment_size: 20
    .language:       OpenCL C
    .language_version:
      - 2
      - 0
    .max_flat_workgroup_size: 256
    .name:           _Z6kernelI13subtract_leftLj256ELj1ELb1EJPdS1_jEEvDpT3_
    .private_segment_fixed_size: 0
    .sgpr_count:     12
    .sgpr_spill_count: 0
    .symbol:         _Z6kernelI13subtract_leftLj256ELj1ELb1EJPdS1_jEEvDpT3_.kd
    .uniform_work_group_size: 1
    .uses_dynamic_stack: false
    .vgpr_count:     6
    .vgpr_spill_count: 0
    .wavefront_size: 64
  - .agpr_count:     0
    .args:
      - .address_space:  global
        .offset:         0
        .size:           8
        .value_kind:     global_buffer
      - .address_space:  global
        .offset:         8
        .size:           8
        .value_kind:     global_buffer
      - .offset:         16
        .size:           4
        .value_kind:     by_value
    .group_segment_fixed_size: 4096
    .kernarg_segment_align: 8
    .kernarg_segment_size: 20
    .language:       OpenCL C
    .language_version:
      - 2
      - 0
    .max_flat_workgroup_size: 256
    .name:           _Z6kernelI13subtract_leftLj256ELj3ELb1EJPdS1_jEEvDpT3_
    .private_segment_fixed_size: 0
    .sgpr_count:     12
    .sgpr_spill_count: 0
    .symbol:         _Z6kernelI13subtract_leftLj256ELj3ELb1EJPdS1_jEEvDpT3_.kd
    .uniform_work_group_size: 1
    .uses_dynamic_stack: false
    .vgpr_count:     14
    .vgpr_spill_count: 0
    .wavefront_size: 64
  - .agpr_count:     0
    .args:
      - .address_space:  global
        .offset:         0
        .size:           8
        .value_kind:     global_buffer
      - .address_space:  global
        .offset:         8
        .size:           8
        .value_kind:     global_buffer
      - .offset:         16
        .size:           4
        .value_kind:     by_value
    .group_segment_fixed_size: 4096
    .kernarg_segment_align: 8
    .kernarg_segment_size: 20
    .language:       OpenCL C
    .language_version:
      - 2
      - 0
    .max_flat_workgroup_size: 256
    .name:           _Z6kernelI13subtract_leftLj256ELj4ELb1EJPdS1_jEEvDpT3_
    .private_segment_fixed_size: 0
    .sgpr_count:     12
    .sgpr_spill_count: 0
    .symbol:         _Z6kernelI13subtract_leftLj256ELj4ELb1EJPdS1_jEEvDpT3_.kd
    .uniform_work_group_size: 1
    .uses_dynamic_stack: false
    .vgpr_count:     18
    .vgpr_spill_count: 0
    .wavefront_size: 64
  - .agpr_count:     0
    .args:
      - .address_space:  global
        .offset:         0
        .size:           8
        .value_kind:     global_buffer
      - .address_space:  global
        .offset:         8
        .size:           8
        .value_kind:     global_buffer
      - .offset:         16
        .size:           4
        .value_kind:     by_value
    .group_segment_fixed_size: 4096
    .kernarg_segment_align: 8
    .kernarg_segment_size: 20
    .language:       OpenCL C
    .language_version:
      - 2
      - 0
    .max_flat_workgroup_size: 256
    .name:           _Z6kernelI13subtract_leftLj256ELj8ELb1EJPdS1_jEEvDpT3_
    .private_segment_fixed_size: 0
    .sgpr_count:     12
    .sgpr_spill_count: 0
    .symbol:         _Z6kernelI13subtract_leftLj256ELj8ELb1EJPdS1_jEEvDpT3_.kd
    .uniform_work_group_size: 1
    .uses_dynamic_stack: false
    .vgpr_count:     34
    .vgpr_spill_count: 0
    .wavefront_size: 64
  - .agpr_count:     0
    .args:
      - .address_space:  global
        .offset:         0
        .size:           8
        .value_kind:     global_buffer
      - .address_space:  global
        .offset:         8
        .size:           8
        .value_kind:     global_buffer
      - .offset:         16
        .size:           4
        .value_kind:     by_value
    .group_segment_fixed_size: 4096
    .kernarg_segment_align: 8
    .kernarg_segment_size: 20
    .language:       OpenCL C
    .language_version:
      - 2
      - 0
    .max_flat_workgroup_size: 256
    .name:           _Z6kernelI13subtract_leftLj256ELj16ELb1EJPdS1_jEEvDpT3_
    .private_segment_fixed_size: 0
    .sgpr_count:     12
    .sgpr_spill_count: 0
    .symbol:         _Z6kernelI13subtract_leftLj256ELj16ELb1EJPdS1_jEEvDpT3_.kd
    .uniform_work_group_size: 1
    .uses_dynamic_stack: false
    .vgpr_count:     62
    .vgpr_spill_count: 0
    .wavefront_size: 64
  - .agpr_count:     0
    .args:
      - .address_space:  global
        .offset:         0
        .size:           8
        .value_kind:     global_buffer
      - .address_space:  global
        .offset:         8
        .size:           8
        .value_kind:     global_buffer
      - .offset:         16
        .size:           4
        .value_kind:     by_value
    .group_segment_fixed_size: 4096
    .kernarg_segment_align: 8
    .kernarg_segment_size: 20
    .language:       OpenCL C
    .language_version:
      - 2
      - 0
    .max_flat_workgroup_size: 256
    .name:           _Z6kernelI13subtract_leftLj256ELj32ELb1EJPdS1_jEEvDpT3_
    .private_segment_fixed_size: 0
    .sgpr_count:     12
    .sgpr_spill_count: 0
    .symbol:         _Z6kernelI13subtract_leftLj256ELj32ELb1EJPdS1_jEEvDpT3_.kd
    .uniform_work_group_size: 1
    .uses_dynamic_stack: false
    .vgpr_count:     80
    .vgpr_spill_count: 0
    .wavefront_size: 64
  - .agpr_count:     0
    .args:
      - .address_space:  global
        .offset:         0
        .size:           8
        .value_kind:     global_buffer
      - .address_space:  global
        .offset:         8
        .size:           8
        .value_kind:     global_buffer
      - .offset:         16
        .size:           4
        .value_kind:     by_value
    .group_segment_fixed_size: 2048
    .kernarg_segment_align: 8
    .kernarg_segment_size: 20
    .language:       OpenCL C
    .language_version:
      - 2
      - 0
    .max_flat_workgroup_size: 256
    .name:           _Z6kernelI14subtract_rightLj256ELj1ELb0EJPiS1_jEEvDpT3_
    .private_segment_fixed_size: 0
    .sgpr_count:     12
    .sgpr_spill_count: 0
    .symbol:         _Z6kernelI14subtract_rightLj256ELj1ELb0EJPiS1_jEEvDpT3_.kd
    .uniform_work_group_size: 1
    .uses_dynamic_stack: false
    .vgpr_count:     4
    .vgpr_spill_count: 0
    .wavefront_size: 64
  - .agpr_count:     0
    .args:
      - .address_space:  global
        .offset:         0
        .size:           8
        .value_kind:     global_buffer
      - .address_space:  global
        .offset:         8
        .size:           8
        .value_kind:     global_buffer
      - .offset:         16
        .size:           4
        .value_kind:     by_value
    .group_segment_fixed_size: 2048
    .kernarg_segment_align: 8
    .kernarg_segment_size: 20
    .language:       OpenCL C
    .language_version:
      - 2
      - 0
    .max_flat_workgroup_size: 256
    .name:           _Z6kernelI14subtract_rightLj256ELj3ELb0EJPiS1_jEEvDpT3_
    .private_segment_fixed_size: 0
    .sgpr_count:     12
    .sgpr_spill_count: 0
    .symbol:         _Z6kernelI14subtract_rightLj256ELj3ELb0EJPiS1_jEEvDpT3_.kd
    .uniform_work_group_size: 1
    .uses_dynamic_stack: false
    .vgpr_count:     8
    .vgpr_spill_count: 0
    .wavefront_size: 64
  - .agpr_count:     0
    .args:
      - .address_space:  global
        .offset:         0
        .size:           8
        .value_kind:     global_buffer
      - .address_space:  global
        .offset:         8
        .size:           8
        .value_kind:     global_buffer
      - .offset:         16
        .size:           4
        .value_kind:     by_value
    .group_segment_fixed_size: 2048
    .kernarg_segment_align: 8
    .kernarg_segment_size: 20
    .language:       OpenCL C
    .language_version:
      - 2
      - 0
    .max_flat_workgroup_size: 256
    .name:           _Z6kernelI14subtract_rightLj256ELj4ELb0EJPiS1_jEEvDpT3_
    .private_segment_fixed_size: 0
    .sgpr_count:     12
    .sgpr_spill_count: 0
    .symbol:         _Z6kernelI14subtract_rightLj256ELj4ELb0EJPiS1_jEEvDpT3_.kd
    .uniform_work_group_size: 1
    .uses_dynamic_stack: false
    .vgpr_count:     10
    .vgpr_spill_count: 0
    .wavefront_size: 64
  - .agpr_count:     0
    .args:
      - .address_space:  global
        .offset:         0
        .size:           8
        .value_kind:     global_buffer
      - .address_space:  global
        .offset:         8
        .size:           8
        .value_kind:     global_buffer
      - .offset:         16
        .size:           4
        .value_kind:     by_value
    .group_segment_fixed_size: 2048
    .kernarg_segment_align: 8
    .kernarg_segment_size: 20
    .language:       OpenCL C
    .language_version:
      - 2
      - 0
    .max_flat_workgroup_size: 256
    .name:           _Z6kernelI14subtract_rightLj256ELj8ELb0EJPiS1_jEEvDpT3_
    .private_segment_fixed_size: 0
    .sgpr_count:     12
    .sgpr_spill_count: 0
    .symbol:         _Z6kernelI14subtract_rightLj256ELj8ELb0EJPiS1_jEEvDpT3_.kd
    .uniform_work_group_size: 1
    .uses_dynamic_stack: false
    .vgpr_count:     12
    .vgpr_spill_count: 0
    .wavefront_size: 64
  - .agpr_count:     0
    .args:
      - .address_space:  global
        .offset:         0
        .size:           8
        .value_kind:     global_buffer
      - .address_space:  global
        .offset:         8
        .size:           8
        .value_kind:     global_buffer
      - .offset:         16
        .size:           4
        .value_kind:     by_value
    .group_segment_fixed_size: 2048
    .kernarg_segment_align: 8
    .kernarg_segment_size: 20
    .language:       OpenCL C
    .language_version:
      - 2
      - 0
    .max_flat_workgroup_size: 256
    .name:           _Z6kernelI14subtract_rightLj256ELj16ELb0EJPiS1_jEEvDpT3_
    .private_segment_fixed_size: 0
    .sgpr_count:     12
    .sgpr_spill_count: 0
    .symbol:         _Z6kernelI14subtract_rightLj256ELj16ELb0EJPiS1_jEEvDpT3_.kd
    .uniform_work_group_size: 1
    .uses_dynamic_stack: false
    .vgpr_count:     34
    .vgpr_spill_count: 0
    .wavefront_size: 64
  - .agpr_count:     0
    .args:
      - .address_space:  global
        .offset:         0
        .size:           8
        .value_kind:     global_buffer
      - .address_space:  global
        .offset:         8
        .size:           8
        .value_kind:     global_buffer
      - .offset:         16
        .size:           4
        .value_kind:     by_value
    .group_segment_fixed_size: 2048
    .kernarg_segment_align: 8
    .kernarg_segment_size: 20
    .language:       OpenCL C
    .language_version:
      - 2
      - 0
    .max_flat_workgroup_size: 256
    .name:           _Z6kernelI14subtract_rightLj256ELj32ELb0EJPiS1_jEEvDpT3_
    .private_segment_fixed_size: 0
    .sgpr_count:     12
    .sgpr_spill_count: 0
    .symbol:         _Z6kernelI14subtract_rightLj256ELj32ELb0EJPiS1_jEEvDpT3_.kd
    .uniform_work_group_size: 1
    .uses_dynamic_stack: false
    .vgpr_count:     62
    .vgpr_spill_count: 0
    .wavefront_size: 64
  - .agpr_count:     0
    .args:
      - .address_space:  global
        .offset:         0
        .size:           8
        .value_kind:     global_buffer
      - .address_space:  global
        .offset:         8
        .size:           8
        .value_kind:     global_buffer
      - .offset:         16
        .size:           4
        .value_kind:     by_value
    .group_segment_fixed_size: 2048
    .kernarg_segment_align: 8
    .kernarg_segment_size: 20
    .language:       OpenCL C
    .language_version:
      - 2
      - 0
    .max_flat_workgroup_size: 256
    .name:           _Z6kernelI14subtract_rightLj256ELj1ELb0EJPfS1_jEEvDpT3_
    .private_segment_fixed_size: 0
    .sgpr_count:     12
    .sgpr_spill_count: 0
    .symbol:         _Z6kernelI14subtract_rightLj256ELj1ELb0EJPfS1_jEEvDpT3_.kd
    .uniform_work_group_size: 1
    .uses_dynamic_stack: false
    .vgpr_count:     4
    .vgpr_spill_count: 0
    .wavefront_size: 64
  - .agpr_count:     0
    .args:
      - .address_space:  global
        .offset:         0
        .size:           8
        .value_kind:     global_buffer
      - .address_space:  global
        .offset:         8
        .size:           8
        .value_kind:     global_buffer
      - .offset:         16
        .size:           4
        .value_kind:     by_value
    .group_segment_fixed_size: 2048
    .kernarg_segment_align: 8
    .kernarg_segment_size: 20
    .language:       OpenCL C
    .language_version:
      - 2
      - 0
    .max_flat_workgroup_size: 256
    .name:           _Z6kernelI14subtract_rightLj256ELj3ELb0EJPfS1_jEEvDpT3_
    .private_segment_fixed_size: 0
    .sgpr_count:     12
    .sgpr_spill_count: 0
    .symbol:         _Z6kernelI14subtract_rightLj256ELj3ELb0EJPfS1_jEEvDpT3_.kd
    .uniform_work_group_size: 1
    .uses_dynamic_stack: false
    .vgpr_count:     8
    .vgpr_spill_count: 0
    .wavefront_size: 64
  - .agpr_count:     0
    .args:
      - .address_space:  global
        .offset:         0
        .size:           8
        .value_kind:     global_buffer
      - .address_space:  global
        .offset:         8
        .size:           8
        .value_kind:     global_buffer
      - .offset:         16
        .size:           4
        .value_kind:     by_value
    .group_segment_fixed_size: 2048
    .kernarg_segment_align: 8
    .kernarg_segment_size: 20
    .language:       OpenCL C
    .language_version:
      - 2
      - 0
    .max_flat_workgroup_size: 256
    .name:           _Z6kernelI14subtract_rightLj256ELj4ELb0EJPfS1_jEEvDpT3_
    .private_segment_fixed_size: 0
    .sgpr_count:     12
    .sgpr_spill_count: 0
    .symbol:         _Z6kernelI14subtract_rightLj256ELj4ELb0EJPfS1_jEEvDpT3_.kd
    .uniform_work_group_size: 1
    .uses_dynamic_stack: false
    .vgpr_count:     12
    .vgpr_spill_count: 0
    .wavefront_size: 64
  - .agpr_count:     0
    .args:
      - .address_space:  global
        .offset:         0
        .size:           8
        .value_kind:     global_buffer
      - .address_space:  global
        .offset:         8
        .size:           8
        .value_kind:     global_buffer
      - .offset:         16
        .size:           4
        .value_kind:     by_value
    .group_segment_fixed_size: 2048
    .kernarg_segment_align: 8
    .kernarg_segment_size: 20
    .language:       OpenCL C
    .language_version:
      - 2
      - 0
    .max_flat_workgroup_size: 256
    .name:           _Z6kernelI14subtract_rightLj256ELj8ELb0EJPfS1_jEEvDpT3_
    .private_segment_fixed_size: 0
    .sgpr_count:     12
    .sgpr_spill_count: 0
    .symbol:         _Z6kernelI14subtract_rightLj256ELj8ELb0EJPfS1_jEEvDpT3_.kd
    .uniform_work_group_size: 1
    .uses_dynamic_stack: false
    .vgpr_count:     20
    .vgpr_spill_count: 0
    .wavefront_size: 64
  - .agpr_count:     0
    .args:
      - .address_space:  global
        .offset:         0
        .size:           8
        .value_kind:     global_buffer
      - .address_space:  global
        .offset:         8
        .size:           8
        .value_kind:     global_buffer
      - .offset:         16
        .size:           4
        .value_kind:     by_value
    .group_segment_fixed_size: 2048
    .kernarg_segment_align: 8
    .kernarg_segment_size: 20
    .language:       OpenCL C
    .language_version:
      - 2
      - 0
    .max_flat_workgroup_size: 256
    .name:           _Z6kernelI14subtract_rightLj256ELj16ELb0EJPfS1_jEEvDpT3_
    .private_segment_fixed_size: 0
    .sgpr_count:     12
    .sgpr_spill_count: 0
    .symbol:         _Z6kernelI14subtract_rightLj256ELj16ELb0EJPfS1_jEEvDpT3_.kd
    .uniform_work_group_size: 1
    .uses_dynamic_stack: false
    .vgpr_count:     36
    .vgpr_spill_count: 0
    .wavefront_size: 64
  - .agpr_count:     0
    .args:
      - .address_space:  global
        .offset:         0
        .size:           8
        .value_kind:     global_buffer
      - .address_space:  global
        .offset:         8
        .size:           8
        .value_kind:     global_buffer
      - .offset:         16
        .size:           4
        .value_kind:     by_value
    .group_segment_fixed_size: 2048
    .kernarg_segment_align: 8
    .kernarg_segment_size: 20
    .language:       OpenCL C
    .language_version:
      - 2
      - 0
    .max_flat_workgroup_size: 256
    .name:           _Z6kernelI14subtract_rightLj256ELj32ELb0EJPfS1_jEEvDpT3_
    .private_segment_fixed_size: 0
    .sgpr_count:     12
    .sgpr_spill_count: 0
    .symbol:         _Z6kernelI14subtract_rightLj256ELj32ELb0EJPfS1_jEEvDpT3_.kd
    .uniform_work_group_size: 1
    .uses_dynamic_stack: false
    .vgpr_count:     62
    .vgpr_spill_count: 0
    .wavefront_size: 64
  - .agpr_count:     0
    .args:
      - .address_space:  global
        .offset:         0
        .size:           8
        .value_kind:     global_buffer
      - .address_space:  global
        .offset:         8
        .size:           8
        .value_kind:     global_buffer
      - .offset:         16
        .size:           4
        .value_kind:     by_value
    .group_segment_fixed_size: 512
    .kernarg_segment_align: 8
    .kernarg_segment_size: 20
    .language:       OpenCL C
    .language_version:
      - 2
      - 0
    .max_flat_workgroup_size: 256
    .name:           _Z6kernelI14subtract_rightLj256ELj1ELb0EJPaS1_jEEvDpT3_
    .private_segment_fixed_size: 0
    .sgpr_count:     12
    .sgpr_spill_count: 0
    .symbol:         _Z6kernelI14subtract_rightLj256ELj1ELb0EJPaS1_jEEvDpT3_.kd
    .uniform_work_group_size: 1
    .uses_dynamic_stack: false
    .vgpr_count:     4
    .vgpr_spill_count: 0
    .wavefront_size: 64
  - .agpr_count:     0
    .args:
      - .address_space:  global
        .offset:         0
        .size:           8
        .value_kind:     global_buffer
      - .address_space:  global
        .offset:         8
        .size:           8
        .value_kind:     global_buffer
      - .offset:         16
        .size:           4
        .value_kind:     by_value
    .group_segment_fixed_size: 512
    .kernarg_segment_align: 8
    .kernarg_segment_size: 20
    .language:       OpenCL C
    .language_version:
      - 2
      - 0
    .max_flat_workgroup_size: 256
    .name:           _Z6kernelI14subtract_rightLj256ELj3ELb0EJPaS1_jEEvDpT3_
    .private_segment_fixed_size: 0
    .sgpr_count:     12
    .sgpr_spill_count: 0
    .symbol:         _Z6kernelI14subtract_rightLj256ELj3ELb0EJPaS1_jEEvDpT3_.kd
    .uniform_work_group_size: 1
    .uses_dynamic_stack: false
    .vgpr_count:     7
    .vgpr_spill_count: 0
    .wavefront_size: 64
  - .agpr_count:     0
    .args:
      - .address_space:  global
        .offset:         0
        .size:           8
        .value_kind:     global_buffer
      - .address_space:  global
        .offset:         8
        .size:           8
        .value_kind:     global_buffer
      - .offset:         16
        .size:           4
        .value_kind:     by_value
    .group_segment_fixed_size: 512
    .kernarg_segment_align: 8
    .kernarg_segment_size: 20
    .language:       OpenCL C
    .language_version:
      - 2
      - 0
    .max_flat_workgroup_size: 256
    .name:           _Z6kernelI14subtract_rightLj256ELj4ELb0EJPaS1_jEEvDpT3_
    .private_segment_fixed_size: 0
    .sgpr_count:     13
    .sgpr_spill_count: 0
    .symbol:         _Z6kernelI14subtract_rightLj256ELj4ELb0EJPaS1_jEEvDpT3_.kd
    .uniform_work_group_size: 1
    .uses_dynamic_stack: false
    .vgpr_count:     7
    .vgpr_spill_count: 0
    .wavefront_size: 64
  - .agpr_count:     0
    .args:
      - .address_space:  global
        .offset:         0
        .size:           8
        .value_kind:     global_buffer
      - .address_space:  global
        .offset:         8
        .size:           8
        .value_kind:     global_buffer
      - .offset:         16
        .size:           4
        .value_kind:     by_value
    .group_segment_fixed_size: 512
    .kernarg_segment_align: 8
    .kernarg_segment_size: 20
    .language:       OpenCL C
    .language_version:
      - 2
      - 0
    .max_flat_workgroup_size: 256
    .name:           _Z6kernelI14subtract_rightLj256ELj8ELb0EJPaS1_jEEvDpT3_
    .private_segment_fixed_size: 0
    .sgpr_count:     13
    .sgpr_spill_count: 0
    .symbol:         _Z6kernelI14subtract_rightLj256ELj8ELb0EJPaS1_jEEvDpT3_.kd
    .uniform_work_group_size: 1
    .uses_dynamic_stack: false
    .vgpr_count:     15
    .vgpr_spill_count: 0
    .wavefront_size: 64
  - .agpr_count:     0
    .args:
      - .address_space:  global
        .offset:         0
        .size:           8
        .value_kind:     global_buffer
      - .address_space:  global
        .offset:         8
        .size:           8
        .value_kind:     global_buffer
      - .offset:         16
        .size:           4
        .value_kind:     by_value
    .group_segment_fixed_size: 512
    .kernarg_segment_align: 8
    .kernarg_segment_size: 20
    .language:       OpenCL C
    .language_version:
      - 2
      - 0
    .max_flat_workgroup_size: 256
    .name:           _Z6kernelI14subtract_rightLj256ELj16ELb0EJPaS1_jEEvDpT3_
    .private_segment_fixed_size: 0
    .sgpr_count:     12
    .sgpr_spill_count: 0
    .symbol:         _Z6kernelI14subtract_rightLj256ELj16ELb0EJPaS1_jEEvDpT3_.kd
    .uniform_work_group_size: 1
    .uses_dynamic_stack: false
    .vgpr_count:     26
    .vgpr_spill_count: 0
    .wavefront_size: 64
  - .agpr_count:     0
    .args:
      - .address_space:  global
        .offset:         0
        .size:           8
        .value_kind:     global_buffer
      - .address_space:  global
        .offset:         8
        .size:           8
        .value_kind:     global_buffer
      - .offset:         16
        .size:           4
        .value_kind:     by_value
    .group_segment_fixed_size: 512
    .kernarg_segment_align: 8
    .kernarg_segment_size: 20
    .language:       OpenCL C
    .language_version:
      - 2
      - 0
    .max_flat_workgroup_size: 256
    .name:           _Z6kernelI14subtract_rightLj256ELj32ELb0EJPaS1_jEEvDpT3_
    .private_segment_fixed_size: 0
    .sgpr_count:     12
    .sgpr_spill_count: 0
    .symbol:         _Z6kernelI14subtract_rightLj256ELj32ELb0EJPaS1_jEEvDpT3_.kd
    .uniform_work_group_size: 1
    .uses_dynamic_stack: false
    .vgpr_count:     61
    .vgpr_spill_count: 0
    .wavefront_size: 64
  - .agpr_count:     0
    .args:
      - .address_space:  global
        .offset:         0
        .size:           8
        .value_kind:     global_buffer
      - .address_space:  global
        .offset:         8
        .size:           8
        .value_kind:     global_buffer
      - .offset:         16
        .size:           4
        .value_kind:     by_value
    .group_segment_fixed_size: 4096
    .kernarg_segment_align: 8
    .kernarg_segment_size: 20
    .language:       OpenCL C
    .language_version:
      - 2
      - 0
    .max_flat_workgroup_size: 256
    .name:           _Z6kernelI14subtract_rightLj256ELj1ELb0EJPxS1_jEEvDpT3_
    .private_segment_fixed_size: 0
    .sgpr_count:     13
    .sgpr_spill_count: 0
    .symbol:         _Z6kernelI14subtract_rightLj256ELj1ELb0EJPxS1_jEEvDpT3_.kd
    .uniform_work_group_size: 1
    .uses_dynamic_stack: false
    .vgpr_count:     6
    .vgpr_spill_count: 0
    .wavefront_size: 64
  - .agpr_count:     0
    .args:
      - .address_space:  global
        .offset:         0
        .size:           8
        .value_kind:     global_buffer
      - .address_space:  global
        .offset:         8
        .size:           8
        .value_kind:     global_buffer
      - .offset:         16
        .size:           4
        .value_kind:     by_value
    .group_segment_fixed_size: 4096
    .kernarg_segment_align: 8
    .kernarg_segment_size: 20
    .language:       OpenCL C
    .language_version:
      - 2
      - 0
    .max_flat_workgroup_size: 256
    .name:           _Z6kernelI14subtract_rightLj256ELj3ELb0EJPxS1_jEEvDpT3_
    .private_segment_fixed_size: 0
    .sgpr_count:     13
    .sgpr_spill_count: 0
    .symbol:         _Z6kernelI14subtract_rightLj256ELj3ELb0EJPxS1_jEEvDpT3_.kd
    .uniform_work_group_size: 1
    .uses_dynamic_stack: false
    .vgpr_count:     12
    .vgpr_spill_count: 0
    .wavefront_size: 64
  - .agpr_count:     0
    .args:
      - .address_space:  global
        .offset:         0
        .size:           8
        .value_kind:     global_buffer
      - .address_space:  global
        .offset:         8
        .size:           8
        .value_kind:     global_buffer
      - .offset:         16
        .size:           4
        .value_kind:     by_value
    .group_segment_fixed_size: 4096
    .kernarg_segment_align: 8
    .kernarg_segment_size: 20
    .language:       OpenCL C
    .language_version:
      - 2
      - 0
    .max_flat_workgroup_size: 256
    .name:           _Z6kernelI14subtract_rightLj256ELj4ELb0EJPxS1_jEEvDpT3_
    .private_segment_fixed_size: 0
    .sgpr_count:     13
    .sgpr_spill_count: 0
    .symbol:         _Z6kernelI14subtract_rightLj256ELj4ELb0EJPxS1_jEEvDpT3_.kd
    .uniform_work_group_size: 1
    .uses_dynamic_stack: false
    .vgpr_count:     14
    .vgpr_spill_count: 0
    .wavefront_size: 64
  - .agpr_count:     0
    .args:
      - .address_space:  global
        .offset:         0
        .size:           8
        .value_kind:     global_buffer
      - .address_space:  global
        .offset:         8
        .size:           8
        .value_kind:     global_buffer
      - .offset:         16
        .size:           4
        .value_kind:     by_value
    .group_segment_fixed_size: 4096
    .kernarg_segment_align: 8
    .kernarg_segment_size: 20
    .language:       OpenCL C
    .language_version:
      - 2
      - 0
    .max_flat_workgroup_size: 256
    .name:           _Z6kernelI14subtract_rightLj256ELj8ELb0EJPxS1_jEEvDpT3_
    .private_segment_fixed_size: 0
    .sgpr_count:     13
    .sgpr_spill_count: 0
    .symbol:         _Z6kernelI14subtract_rightLj256ELj8ELb0EJPxS1_jEEvDpT3_.kd
    .uniform_work_group_size: 1
    .uses_dynamic_stack: false
    .vgpr_count:     34
    .vgpr_spill_count: 0
    .wavefront_size: 64
  - .agpr_count:     0
    .args:
      - .address_space:  global
        .offset:         0
        .size:           8
        .value_kind:     global_buffer
      - .address_space:  global
        .offset:         8
        .size:           8
        .value_kind:     global_buffer
      - .offset:         16
        .size:           4
        .value_kind:     by_value
    .group_segment_fixed_size: 4096
    .kernarg_segment_align: 8
    .kernarg_segment_size: 20
    .language:       OpenCL C
    .language_version:
      - 2
      - 0
    .max_flat_workgroup_size: 256
    .name:           _Z6kernelI14subtract_rightLj256ELj16ELb0EJPxS1_jEEvDpT3_
    .private_segment_fixed_size: 0
    .sgpr_count:     13
    .sgpr_spill_count: 0
    .symbol:         _Z6kernelI14subtract_rightLj256ELj16ELb0EJPxS1_jEEvDpT3_.kd
    .uniform_work_group_size: 1
    .uses_dynamic_stack: false
    .vgpr_count:     62
    .vgpr_spill_count: 0
    .wavefront_size: 64
  - .agpr_count:     0
    .args:
      - .address_space:  global
        .offset:         0
        .size:           8
        .value_kind:     global_buffer
      - .address_space:  global
        .offset:         8
        .size:           8
        .value_kind:     global_buffer
      - .offset:         16
        .size:           4
        .value_kind:     by_value
    .group_segment_fixed_size: 4096
    .kernarg_segment_align: 8
    .kernarg_segment_size: 20
    .language:       OpenCL C
    .language_version:
      - 2
      - 0
    .max_flat_workgroup_size: 256
    .name:           _Z6kernelI14subtract_rightLj256ELj32ELb0EJPxS1_jEEvDpT3_
    .private_segment_fixed_size: 0
    .sgpr_count:     13
    .sgpr_spill_count: 0
    .symbol:         _Z6kernelI14subtract_rightLj256ELj32ELb0EJPxS1_jEEvDpT3_.kd
    .uniform_work_group_size: 1
    .uses_dynamic_stack: false
    .vgpr_count:     80
    .vgpr_spill_count: 0
    .wavefront_size: 64
  - .agpr_count:     0
    .args:
      - .address_space:  global
        .offset:         0
        .size:           8
        .value_kind:     global_buffer
      - .address_space:  global
        .offset:         8
        .size:           8
        .value_kind:     global_buffer
      - .offset:         16
        .size:           4
        .value_kind:     by_value
    .group_segment_fixed_size: 4096
    .kernarg_segment_align: 8
    .kernarg_segment_size: 20
    .language:       OpenCL C
    .language_version:
      - 2
      - 0
    .max_flat_workgroup_size: 256
    .name:           _Z6kernelI14subtract_rightLj256ELj1ELb0EJPdS1_jEEvDpT3_
    .private_segment_fixed_size: 0
    .sgpr_count:     12
    .sgpr_spill_count: 0
    .symbol:         _Z6kernelI14subtract_rightLj256ELj1ELb0EJPdS1_jEEvDpT3_.kd
    .uniform_work_group_size: 1
    .uses_dynamic_stack: false
    .vgpr_count:     6
    .vgpr_spill_count: 0
    .wavefront_size: 64
  - .agpr_count:     0
    .args:
      - .address_space:  global
        .offset:         0
        .size:           8
        .value_kind:     global_buffer
      - .address_space:  global
        .offset:         8
        .size:           8
        .value_kind:     global_buffer
      - .offset:         16
        .size:           4
        .value_kind:     by_value
    .group_segment_fixed_size: 4096
    .kernarg_segment_align: 8
    .kernarg_segment_size: 20
    .language:       OpenCL C
    .language_version:
      - 2
      - 0
    .max_flat_workgroup_size: 256
    .name:           _Z6kernelI14subtract_rightLj256ELj3ELb0EJPdS1_jEEvDpT3_
    .private_segment_fixed_size: 0
    .sgpr_count:     12
    .sgpr_spill_count: 0
    .symbol:         _Z6kernelI14subtract_rightLj256ELj3ELb0EJPdS1_jEEvDpT3_.kd
    .uniform_work_group_size: 1
    .uses_dynamic_stack: false
    .vgpr_count:     14
    .vgpr_spill_count: 0
    .wavefront_size: 64
  - .agpr_count:     0
    .args:
      - .address_space:  global
        .offset:         0
        .size:           8
        .value_kind:     global_buffer
      - .address_space:  global
        .offset:         8
        .size:           8
        .value_kind:     global_buffer
      - .offset:         16
        .size:           4
        .value_kind:     by_value
    .group_segment_fixed_size: 4096
    .kernarg_segment_align: 8
    .kernarg_segment_size: 20
    .language:       OpenCL C
    .language_version:
      - 2
      - 0
    .max_flat_workgroup_size: 256
    .name:           _Z6kernelI14subtract_rightLj256ELj4ELb0EJPdS1_jEEvDpT3_
    .private_segment_fixed_size: 0
    .sgpr_count:     12
    .sgpr_spill_count: 0
    .symbol:         _Z6kernelI14subtract_rightLj256ELj4ELb0EJPdS1_jEEvDpT3_.kd
    .uniform_work_group_size: 1
    .uses_dynamic_stack: false
    .vgpr_count:     18
    .vgpr_spill_count: 0
    .wavefront_size: 64
  - .agpr_count:     0
    .args:
      - .address_space:  global
        .offset:         0
        .size:           8
        .value_kind:     global_buffer
      - .address_space:  global
        .offset:         8
        .size:           8
        .value_kind:     global_buffer
      - .offset:         16
        .size:           4
        .value_kind:     by_value
    .group_segment_fixed_size: 4096
    .kernarg_segment_align: 8
    .kernarg_segment_size: 20
    .language:       OpenCL C
    .language_version:
      - 2
      - 0
    .max_flat_workgroup_size: 256
    .name:           _Z6kernelI14subtract_rightLj256ELj8ELb0EJPdS1_jEEvDpT3_
    .private_segment_fixed_size: 0
    .sgpr_count:     12
    .sgpr_spill_count: 0
    .symbol:         _Z6kernelI14subtract_rightLj256ELj8ELb0EJPdS1_jEEvDpT3_.kd
    .uniform_work_group_size: 1
    .uses_dynamic_stack: false
    .vgpr_count:     34
    .vgpr_spill_count: 0
    .wavefront_size: 64
  - .agpr_count:     0
    .args:
      - .address_space:  global
        .offset:         0
        .size:           8
        .value_kind:     global_buffer
      - .address_space:  global
        .offset:         8
        .size:           8
        .value_kind:     global_buffer
      - .offset:         16
        .size:           4
        .value_kind:     by_value
    .group_segment_fixed_size: 4096
    .kernarg_segment_align: 8
    .kernarg_segment_size: 20
    .language:       OpenCL C
    .language_version:
      - 2
      - 0
    .max_flat_workgroup_size: 256
    .name:           _Z6kernelI14subtract_rightLj256ELj16ELb0EJPdS1_jEEvDpT3_
    .private_segment_fixed_size: 0
    .sgpr_count:     12
    .sgpr_spill_count: 0
    .symbol:         _Z6kernelI14subtract_rightLj256ELj16ELb0EJPdS1_jEEvDpT3_.kd
    .uniform_work_group_size: 1
    .uses_dynamic_stack: false
    .vgpr_count:     62
    .vgpr_spill_count: 0
    .wavefront_size: 64
  - .agpr_count:     0
    .args:
      - .address_space:  global
        .offset:         0
        .size:           8
        .value_kind:     global_buffer
      - .address_space:  global
        .offset:         8
        .size:           8
        .value_kind:     global_buffer
      - .offset:         16
        .size:           4
        .value_kind:     by_value
    .group_segment_fixed_size: 4096
    .kernarg_segment_align: 8
    .kernarg_segment_size: 20
    .language:       OpenCL C
    .language_version:
      - 2
      - 0
    .max_flat_workgroup_size: 256
    .name:           _Z6kernelI14subtract_rightLj256ELj32ELb0EJPdS1_jEEvDpT3_
    .private_segment_fixed_size: 0
    .sgpr_count:     12
    .sgpr_spill_count: 0
    .symbol:         _Z6kernelI14subtract_rightLj256ELj32ELb0EJPdS1_jEEvDpT3_.kd
    .uniform_work_group_size: 1
    .uses_dynamic_stack: false
    .vgpr_count:     80
    .vgpr_spill_count: 0
    .wavefront_size: 64
  - .agpr_count:     0
    .args:
      - .address_space:  global
        .offset:         0
        .size:           8
        .value_kind:     global_buffer
      - .address_space:  global
        .offset:         8
        .size:           8
        .value_kind:     global_buffer
      - .offset:         16
        .size:           4
        .value_kind:     by_value
    .group_segment_fixed_size: 2048
    .kernarg_segment_align: 8
    .kernarg_segment_size: 20
    .language:       OpenCL C
    .language_version:
      - 2
      - 0
    .max_flat_workgroup_size: 256
    .name:           _Z6kernelI14subtract_rightLj256ELj1ELb1EJPiS1_jEEvDpT3_
    .private_segment_fixed_size: 0
    .sgpr_count:     12
    .sgpr_spill_count: 0
    .symbol:         _Z6kernelI14subtract_rightLj256ELj1ELb1EJPiS1_jEEvDpT3_.kd
    .uniform_work_group_size: 1
    .uses_dynamic_stack: false
    .vgpr_count:     4
    .vgpr_spill_count: 0
    .wavefront_size: 64
  - .agpr_count:     0
    .args:
      - .address_space:  global
        .offset:         0
        .size:           8
        .value_kind:     global_buffer
      - .address_space:  global
        .offset:         8
        .size:           8
        .value_kind:     global_buffer
      - .offset:         16
        .size:           4
        .value_kind:     by_value
    .group_segment_fixed_size: 2048
    .kernarg_segment_align: 8
    .kernarg_segment_size: 20
    .language:       OpenCL C
    .language_version:
      - 2
      - 0
    .max_flat_workgroup_size: 256
    .name:           _Z6kernelI14subtract_rightLj256ELj3ELb1EJPiS1_jEEvDpT3_
    .private_segment_fixed_size: 0
    .sgpr_count:     12
    .sgpr_spill_count: 0
    .symbol:         _Z6kernelI14subtract_rightLj256ELj3ELb1EJPiS1_jEEvDpT3_.kd
    .uniform_work_group_size: 1
    .uses_dynamic_stack: false
    .vgpr_count:     6
    .vgpr_spill_count: 0
    .wavefront_size: 64
  - .agpr_count:     0
    .args:
      - .address_space:  global
        .offset:         0
        .size:           8
        .value_kind:     global_buffer
      - .address_space:  global
        .offset:         8
        .size:           8
        .value_kind:     global_buffer
      - .offset:         16
        .size:           4
        .value_kind:     by_value
    .group_segment_fixed_size: 2048
    .kernarg_segment_align: 8
    .kernarg_segment_size: 20
    .language:       OpenCL C
    .language_version:
      - 2
      - 0
    .max_flat_workgroup_size: 256
    .name:           _Z6kernelI14subtract_rightLj256ELj4ELb1EJPiS1_jEEvDpT3_
    .private_segment_fixed_size: 0
    .sgpr_count:     12
    .sgpr_spill_count: 0
    .symbol:         _Z6kernelI14subtract_rightLj256ELj4ELb1EJPiS1_jEEvDpT3_.kd
    .uniform_work_group_size: 1
    .uses_dynamic_stack: false
    .vgpr_count:     7
    .vgpr_spill_count: 0
    .wavefront_size: 64
  - .agpr_count:     0
    .args:
      - .address_space:  global
        .offset:         0
        .size:           8
        .value_kind:     global_buffer
      - .address_space:  global
        .offset:         8
        .size:           8
        .value_kind:     global_buffer
      - .offset:         16
        .size:           4
        .value_kind:     by_value
    .group_segment_fixed_size: 2048
    .kernarg_segment_align: 8
    .kernarg_segment_size: 20
    .language:       OpenCL C
    .language_version:
      - 2
      - 0
    .max_flat_workgroup_size: 256
    .name:           _Z6kernelI14subtract_rightLj256ELj8ELb1EJPiS1_jEEvDpT3_
    .private_segment_fixed_size: 0
    .sgpr_count:     12
    .sgpr_spill_count: 0
    .symbol:         _Z6kernelI14subtract_rightLj256ELj8ELb1EJPiS1_jEEvDpT3_.kd
    .uniform_work_group_size: 1
    .uses_dynamic_stack: false
    .vgpr_count:     12
    .vgpr_spill_count: 0
    .wavefront_size: 64
  - .agpr_count:     0
    .args:
      - .address_space:  global
        .offset:         0
        .size:           8
        .value_kind:     global_buffer
      - .address_space:  global
        .offset:         8
        .size:           8
        .value_kind:     global_buffer
      - .offset:         16
        .size:           4
        .value_kind:     by_value
    .group_segment_fixed_size: 2048
    .kernarg_segment_align: 8
    .kernarg_segment_size: 20
    .language:       OpenCL C
    .language_version:
      - 2
      - 0
    .max_flat_workgroup_size: 256
    .name:           _Z6kernelI14subtract_rightLj256ELj16ELb1EJPiS1_jEEvDpT3_
    .private_segment_fixed_size: 0
    .sgpr_count:     12
    .sgpr_spill_count: 0
    .symbol:         _Z6kernelI14subtract_rightLj256ELj16ELb1EJPiS1_jEEvDpT3_.kd
    .uniform_work_group_size: 1
    .uses_dynamic_stack: false
    .vgpr_count:     34
    .vgpr_spill_count: 0
    .wavefront_size: 64
  - .agpr_count:     0
    .args:
      - .address_space:  global
        .offset:         0
        .size:           8
        .value_kind:     global_buffer
      - .address_space:  global
        .offset:         8
        .size:           8
        .value_kind:     global_buffer
      - .offset:         16
        .size:           4
        .value_kind:     by_value
    .group_segment_fixed_size: 2048
    .kernarg_segment_align: 8
    .kernarg_segment_size: 20
    .language:       OpenCL C
    .language_version:
      - 2
      - 0
    .max_flat_workgroup_size: 256
    .name:           _Z6kernelI14subtract_rightLj256ELj32ELb1EJPiS1_jEEvDpT3_
    .private_segment_fixed_size: 0
    .sgpr_count:     12
    .sgpr_spill_count: 0
    .symbol:         _Z6kernelI14subtract_rightLj256ELj32ELb1EJPiS1_jEEvDpT3_.kd
    .uniform_work_group_size: 1
    .uses_dynamic_stack: false
    .vgpr_count:     62
    .vgpr_spill_count: 0
    .wavefront_size: 64
  - .agpr_count:     0
    .args:
      - .address_space:  global
        .offset:         0
        .size:           8
        .value_kind:     global_buffer
      - .address_space:  global
        .offset:         8
        .size:           8
        .value_kind:     global_buffer
      - .offset:         16
        .size:           4
        .value_kind:     by_value
    .group_segment_fixed_size: 2048
    .kernarg_segment_align: 8
    .kernarg_segment_size: 20
    .language:       OpenCL C
    .language_version:
      - 2
      - 0
    .max_flat_workgroup_size: 256
    .name:           _Z6kernelI14subtract_rightLj256ELj1ELb1EJPfS1_jEEvDpT3_
    .private_segment_fixed_size: 0
    .sgpr_count:     12
    .sgpr_spill_count: 0
    .symbol:         _Z6kernelI14subtract_rightLj256ELj1ELb1EJPfS1_jEEvDpT3_.kd
    .uniform_work_group_size: 1
    .uses_dynamic_stack: false
    .vgpr_count:     4
    .vgpr_spill_count: 0
    .wavefront_size: 64
  - .agpr_count:     0
    .args:
      - .address_space:  global
        .offset:         0
        .size:           8
        .value_kind:     global_buffer
      - .address_space:  global
        .offset:         8
        .size:           8
        .value_kind:     global_buffer
      - .offset:         16
        .size:           4
        .value_kind:     by_value
    .group_segment_fixed_size: 2048
    .kernarg_segment_align: 8
    .kernarg_segment_size: 20
    .language:       OpenCL C
    .language_version:
      - 2
      - 0
    .max_flat_workgroup_size: 256
    .name:           _Z6kernelI14subtract_rightLj256ELj3ELb1EJPfS1_jEEvDpT3_
    .private_segment_fixed_size: 0
    .sgpr_count:     12
    .sgpr_spill_count: 0
    .symbol:         _Z6kernelI14subtract_rightLj256ELj3ELb1EJPfS1_jEEvDpT3_.kd
    .uniform_work_group_size: 1
    .uses_dynamic_stack: false
    .vgpr_count:     10
    .vgpr_spill_count: 0
    .wavefront_size: 64
  - .agpr_count:     0
    .args:
      - .address_space:  global
        .offset:         0
        .size:           8
        .value_kind:     global_buffer
      - .address_space:  global
        .offset:         8
        .size:           8
        .value_kind:     global_buffer
      - .offset:         16
        .size:           4
        .value_kind:     by_value
    .group_segment_fixed_size: 2048
    .kernarg_segment_align: 8
    .kernarg_segment_size: 20
    .language:       OpenCL C
    .language_version:
      - 2
      - 0
    .max_flat_workgroup_size: 256
    .name:           _Z6kernelI14subtract_rightLj256ELj4ELb1EJPfS1_jEEvDpT3_
    .private_segment_fixed_size: 0
    .sgpr_count:     12
    .sgpr_spill_count: 0
    .symbol:         _Z6kernelI14subtract_rightLj256ELj4ELb1EJPfS1_jEEvDpT3_.kd
    .uniform_work_group_size: 1
    .uses_dynamic_stack: false
    .vgpr_count:     12
    .vgpr_spill_count: 0
    .wavefront_size: 64
  - .agpr_count:     0
    .args:
      - .address_space:  global
        .offset:         0
        .size:           8
        .value_kind:     global_buffer
      - .address_space:  global
        .offset:         8
        .size:           8
        .value_kind:     global_buffer
      - .offset:         16
        .size:           4
        .value_kind:     by_value
    .group_segment_fixed_size: 2048
    .kernarg_segment_align: 8
    .kernarg_segment_size: 20
    .language:       OpenCL C
    .language_version:
      - 2
      - 0
    .max_flat_workgroup_size: 256
    .name:           _Z6kernelI14subtract_rightLj256ELj8ELb1EJPfS1_jEEvDpT3_
    .private_segment_fixed_size: 0
    .sgpr_count:     12
    .sgpr_spill_count: 0
    .symbol:         _Z6kernelI14subtract_rightLj256ELj8ELb1EJPfS1_jEEvDpT3_.kd
    .uniform_work_group_size: 1
    .uses_dynamic_stack: false
    .vgpr_count:     20
    .vgpr_spill_count: 0
    .wavefront_size: 64
  - .agpr_count:     0
    .args:
      - .address_space:  global
        .offset:         0
        .size:           8
        .value_kind:     global_buffer
      - .address_space:  global
        .offset:         8
        .size:           8
        .value_kind:     global_buffer
      - .offset:         16
        .size:           4
        .value_kind:     by_value
    .group_segment_fixed_size: 2048
    .kernarg_segment_align: 8
    .kernarg_segment_size: 20
    .language:       OpenCL C
    .language_version:
      - 2
      - 0
    .max_flat_workgroup_size: 256
    .name:           _Z6kernelI14subtract_rightLj256ELj16ELb1EJPfS1_jEEvDpT3_
    .private_segment_fixed_size: 0
    .sgpr_count:     12
    .sgpr_spill_count: 0
    .symbol:         _Z6kernelI14subtract_rightLj256ELj16ELb1EJPfS1_jEEvDpT3_.kd
    .uniform_work_group_size: 1
    .uses_dynamic_stack: false
    .vgpr_count:     36
    .vgpr_spill_count: 0
    .wavefront_size: 64
  - .agpr_count:     0
    .args:
      - .address_space:  global
        .offset:         0
        .size:           8
        .value_kind:     global_buffer
      - .address_space:  global
        .offset:         8
        .size:           8
        .value_kind:     global_buffer
      - .offset:         16
        .size:           4
        .value_kind:     by_value
    .group_segment_fixed_size: 2048
    .kernarg_segment_align: 8
    .kernarg_segment_size: 20
    .language:       OpenCL C
    .language_version:
      - 2
      - 0
    .max_flat_workgroup_size: 256
    .name:           _Z6kernelI14subtract_rightLj256ELj32ELb1EJPfS1_jEEvDpT3_
    .private_segment_fixed_size: 0
    .sgpr_count:     12
    .sgpr_spill_count: 0
    .symbol:         _Z6kernelI14subtract_rightLj256ELj32ELb1EJPfS1_jEEvDpT3_.kd
    .uniform_work_group_size: 1
    .uses_dynamic_stack: false
    .vgpr_count:     62
    .vgpr_spill_count: 0
    .wavefront_size: 64
  - .agpr_count:     0
    .args:
      - .address_space:  global
        .offset:         0
        .size:           8
        .value_kind:     global_buffer
      - .address_space:  global
        .offset:         8
        .size:           8
        .value_kind:     global_buffer
      - .offset:         16
        .size:           4
        .value_kind:     by_value
    .group_segment_fixed_size: 512
    .kernarg_segment_align: 8
    .kernarg_segment_size: 20
    .language:       OpenCL C
    .language_version:
      - 2
      - 0
    .max_flat_workgroup_size: 256
    .name:           _Z6kernelI14subtract_rightLj256ELj1ELb1EJPaS1_jEEvDpT3_
    .private_segment_fixed_size: 0
    .sgpr_count:     12
    .sgpr_spill_count: 0
    .symbol:         _Z6kernelI14subtract_rightLj256ELj1ELb1EJPaS1_jEEvDpT3_.kd
    .uniform_work_group_size: 1
    .uses_dynamic_stack: false
    .vgpr_count:     4
    .vgpr_spill_count: 0
    .wavefront_size: 64
  - .agpr_count:     0
    .args:
      - .address_space:  global
        .offset:         0
        .size:           8
        .value_kind:     global_buffer
      - .address_space:  global
        .offset:         8
        .size:           8
        .value_kind:     global_buffer
      - .offset:         16
        .size:           4
        .value_kind:     by_value
    .group_segment_fixed_size: 512
    .kernarg_segment_align: 8
    .kernarg_segment_size: 20
    .language:       OpenCL C
    .language_version:
      - 2
      - 0
    .max_flat_workgroup_size: 256
    .name:           _Z6kernelI14subtract_rightLj256ELj3ELb1EJPaS1_jEEvDpT3_
    .private_segment_fixed_size: 0
    .sgpr_count:     12
    .sgpr_spill_count: 0
    .symbol:         _Z6kernelI14subtract_rightLj256ELj3ELb1EJPaS1_jEEvDpT3_.kd
    .uniform_work_group_size: 1
    .uses_dynamic_stack: false
    .vgpr_count:     6
    .vgpr_spill_count: 0
    .wavefront_size: 64
  - .agpr_count:     0
    .args:
      - .address_space:  global
        .offset:         0
        .size:           8
        .value_kind:     global_buffer
      - .address_space:  global
        .offset:         8
        .size:           8
        .value_kind:     global_buffer
      - .offset:         16
        .size:           4
        .value_kind:     by_value
    .group_segment_fixed_size: 512
    .kernarg_segment_align: 8
    .kernarg_segment_size: 20
    .language:       OpenCL C
    .language_version:
      - 2
      - 0
    .max_flat_workgroup_size: 256
    .name:           _Z6kernelI14subtract_rightLj256ELj4ELb1EJPaS1_jEEvDpT3_
    .private_segment_fixed_size: 0
    .sgpr_count:     12
    .sgpr_spill_count: 0
    .symbol:         _Z6kernelI14subtract_rightLj256ELj4ELb1EJPaS1_jEEvDpT3_.kd
    .uniform_work_group_size: 1
    .uses_dynamic_stack: false
    .vgpr_count:     7
    .vgpr_spill_count: 0
    .wavefront_size: 64
  - .agpr_count:     0
    .args:
      - .address_space:  global
        .offset:         0
        .size:           8
        .value_kind:     global_buffer
      - .address_space:  global
        .offset:         8
        .size:           8
        .value_kind:     global_buffer
      - .offset:         16
        .size:           4
        .value_kind:     by_value
    .group_segment_fixed_size: 512
    .kernarg_segment_align: 8
    .kernarg_segment_size: 20
    .language:       OpenCL C
    .language_version:
      - 2
      - 0
    .max_flat_workgroup_size: 256
    .name:           _Z6kernelI14subtract_rightLj256ELj8ELb1EJPaS1_jEEvDpT3_
    .private_segment_fixed_size: 0
    .sgpr_count:     12
    .sgpr_spill_count: 0
    .symbol:         _Z6kernelI14subtract_rightLj256ELj8ELb1EJPaS1_jEEvDpT3_.kd
    .uniform_work_group_size: 1
    .uses_dynamic_stack: false
    .vgpr_count:     11
    .vgpr_spill_count: 0
    .wavefront_size: 64
  - .agpr_count:     0
    .args:
      - .address_space:  global
        .offset:         0
        .size:           8
        .value_kind:     global_buffer
      - .address_space:  global
        .offset:         8
        .size:           8
        .value_kind:     global_buffer
      - .offset:         16
        .size:           4
        .value_kind:     by_value
    .group_segment_fixed_size: 512
    .kernarg_segment_align: 8
    .kernarg_segment_size: 20
    .language:       OpenCL C
    .language_version:
      - 2
      - 0
    .max_flat_workgroup_size: 256
    .name:           _Z6kernelI14subtract_rightLj256ELj16ELb1EJPaS1_jEEvDpT3_
    .private_segment_fixed_size: 0
    .sgpr_count:     12
    .sgpr_spill_count: 0
    .symbol:         _Z6kernelI14subtract_rightLj256ELj16ELb1EJPaS1_jEEvDpT3_.kd
    .uniform_work_group_size: 1
    .uses_dynamic_stack: false
    .vgpr_count:     19
    .vgpr_spill_count: 0
    .wavefront_size: 64
  - .agpr_count:     0
    .args:
      - .address_space:  global
        .offset:         0
        .size:           8
        .value_kind:     global_buffer
      - .address_space:  global
        .offset:         8
        .size:           8
        .value_kind:     global_buffer
      - .offset:         16
        .size:           4
        .value_kind:     by_value
    .group_segment_fixed_size: 512
    .kernarg_segment_align: 8
    .kernarg_segment_size: 20
    .language:       OpenCL C
    .language_version:
      - 2
      - 0
    .max_flat_workgroup_size: 256
    .name:           _Z6kernelI14subtract_rightLj256ELj32ELb1EJPaS1_jEEvDpT3_
    .private_segment_fixed_size: 0
    .sgpr_count:     12
    .sgpr_spill_count: 0
    .symbol:         _Z6kernelI14subtract_rightLj256ELj32ELb1EJPaS1_jEEvDpT3_.kd
    .uniform_work_group_size: 1
    .uses_dynamic_stack: false
    .vgpr_count:     61
    .vgpr_spill_count: 0
    .wavefront_size: 64
  - .agpr_count:     0
    .args:
      - .address_space:  global
        .offset:         0
        .size:           8
        .value_kind:     global_buffer
      - .address_space:  global
        .offset:         8
        .size:           8
        .value_kind:     global_buffer
      - .offset:         16
        .size:           4
        .value_kind:     by_value
    .group_segment_fixed_size: 4096
    .kernarg_segment_align: 8
    .kernarg_segment_size: 20
    .language:       OpenCL C
    .language_version:
      - 2
      - 0
    .max_flat_workgroup_size: 256
    .name:           _Z6kernelI14subtract_rightLj256ELj1ELb1EJPxS1_jEEvDpT3_
    .private_segment_fixed_size: 0
    .sgpr_count:     12
    .sgpr_spill_count: 0
    .symbol:         _Z6kernelI14subtract_rightLj256ELj1ELb1EJPxS1_jEEvDpT3_.kd
    .uniform_work_group_size: 1
    .uses_dynamic_stack: false
    .vgpr_count:     6
    .vgpr_spill_count: 0
    .wavefront_size: 64
  - .agpr_count:     0
    .args:
      - .address_space:  global
        .offset:         0
        .size:           8
        .value_kind:     global_buffer
      - .address_space:  global
        .offset:         8
        .size:           8
        .value_kind:     global_buffer
      - .offset:         16
        .size:           4
        .value_kind:     by_value
    .group_segment_fixed_size: 4096
    .kernarg_segment_align: 8
    .kernarg_segment_size: 20
    .language:       OpenCL C
    .language_version:
      - 2
      - 0
    .max_flat_workgroup_size: 256
    .name:           _Z6kernelI14subtract_rightLj256ELj3ELb1EJPxS1_jEEvDpT3_
    .private_segment_fixed_size: 0
    .sgpr_count:     12
    .sgpr_spill_count: 0
    .symbol:         _Z6kernelI14subtract_rightLj256ELj3ELb1EJPxS1_jEEvDpT3_.kd
    .uniform_work_group_size: 1
    .uses_dynamic_stack: false
    .vgpr_count:     12
    .vgpr_spill_count: 0
    .wavefront_size: 64
  - .agpr_count:     0
    .args:
      - .address_space:  global
        .offset:         0
        .size:           8
        .value_kind:     global_buffer
      - .address_space:  global
        .offset:         8
        .size:           8
        .value_kind:     global_buffer
      - .offset:         16
        .size:           4
        .value_kind:     by_value
    .group_segment_fixed_size: 4096
    .kernarg_segment_align: 8
    .kernarg_segment_size: 20
    .language:       OpenCL C
    .language_version:
      - 2
      - 0
    .max_flat_workgroup_size: 256
    .name:           _Z6kernelI14subtract_rightLj256ELj4ELb1EJPxS1_jEEvDpT3_
    .private_segment_fixed_size: 0
    .sgpr_count:     12
    .sgpr_spill_count: 0
    .symbol:         _Z6kernelI14subtract_rightLj256ELj4ELb1EJPxS1_jEEvDpT3_.kd
    .uniform_work_group_size: 1
    .uses_dynamic_stack: false
    .vgpr_count:     14
    .vgpr_spill_count: 0
    .wavefront_size: 64
  - .agpr_count:     0
    .args:
      - .address_space:  global
        .offset:         0
        .size:           8
        .value_kind:     global_buffer
      - .address_space:  global
        .offset:         8
        .size:           8
        .value_kind:     global_buffer
      - .offset:         16
        .size:           4
        .value_kind:     by_value
    .group_segment_fixed_size: 4096
    .kernarg_segment_align: 8
    .kernarg_segment_size: 20
    .language:       OpenCL C
    .language_version:
      - 2
      - 0
    .max_flat_workgroup_size: 256
    .name:           _Z6kernelI14subtract_rightLj256ELj8ELb1EJPxS1_jEEvDpT3_
    .private_segment_fixed_size: 0
    .sgpr_count:     12
    .sgpr_spill_count: 0
    .symbol:         _Z6kernelI14subtract_rightLj256ELj8ELb1EJPxS1_jEEvDpT3_.kd
    .uniform_work_group_size: 1
    .uses_dynamic_stack: false
    .vgpr_count:     34
    .vgpr_spill_count: 0
    .wavefront_size: 64
  - .agpr_count:     0
    .args:
      - .address_space:  global
        .offset:         0
        .size:           8
        .value_kind:     global_buffer
      - .address_space:  global
        .offset:         8
        .size:           8
        .value_kind:     global_buffer
      - .offset:         16
        .size:           4
        .value_kind:     by_value
    .group_segment_fixed_size: 4096
    .kernarg_segment_align: 8
    .kernarg_segment_size: 20
    .language:       OpenCL C
    .language_version:
      - 2
      - 0
    .max_flat_workgroup_size: 256
    .name:           _Z6kernelI14subtract_rightLj256ELj16ELb1EJPxS1_jEEvDpT3_
    .private_segment_fixed_size: 0
    .sgpr_count:     12
    .sgpr_spill_count: 0
    .symbol:         _Z6kernelI14subtract_rightLj256ELj16ELb1EJPxS1_jEEvDpT3_.kd
    .uniform_work_group_size: 1
    .uses_dynamic_stack: false
    .vgpr_count:     62
    .vgpr_spill_count: 0
    .wavefront_size: 64
  - .agpr_count:     0
    .args:
      - .address_space:  global
        .offset:         0
        .size:           8
        .value_kind:     global_buffer
      - .address_space:  global
        .offset:         8
        .size:           8
        .value_kind:     global_buffer
      - .offset:         16
        .size:           4
        .value_kind:     by_value
    .group_segment_fixed_size: 4096
    .kernarg_segment_align: 8
    .kernarg_segment_size: 20
    .language:       OpenCL C
    .language_version:
      - 2
      - 0
    .max_flat_workgroup_size: 256
    .name:           _Z6kernelI14subtract_rightLj256ELj32ELb1EJPxS1_jEEvDpT3_
    .private_segment_fixed_size: 0
    .sgpr_count:     12
    .sgpr_spill_count: 0
    .symbol:         _Z6kernelI14subtract_rightLj256ELj32ELb1EJPxS1_jEEvDpT3_.kd
    .uniform_work_group_size: 1
    .uses_dynamic_stack: false
    .vgpr_count:     80
    .vgpr_spill_count: 0
    .wavefront_size: 64
  - .agpr_count:     0
    .args:
      - .address_space:  global
        .offset:         0
        .size:           8
        .value_kind:     global_buffer
      - .address_space:  global
        .offset:         8
        .size:           8
        .value_kind:     global_buffer
      - .offset:         16
        .size:           4
        .value_kind:     by_value
    .group_segment_fixed_size: 4096
    .kernarg_segment_align: 8
    .kernarg_segment_size: 20
    .language:       OpenCL C
    .language_version:
      - 2
      - 0
    .max_flat_workgroup_size: 256
    .name:           _Z6kernelI14subtract_rightLj256ELj1ELb1EJPdS1_jEEvDpT3_
    .private_segment_fixed_size: 0
    .sgpr_count:     12
    .sgpr_spill_count: 0
    .symbol:         _Z6kernelI14subtract_rightLj256ELj1ELb1EJPdS1_jEEvDpT3_.kd
    .uniform_work_group_size: 1
    .uses_dynamic_stack: false
    .vgpr_count:     6
    .vgpr_spill_count: 0
    .wavefront_size: 64
  - .agpr_count:     0
    .args:
      - .address_space:  global
        .offset:         0
        .size:           8
        .value_kind:     global_buffer
      - .address_space:  global
        .offset:         8
        .size:           8
        .value_kind:     global_buffer
      - .offset:         16
        .size:           4
        .value_kind:     by_value
    .group_segment_fixed_size: 4096
    .kernarg_segment_align: 8
    .kernarg_segment_size: 20
    .language:       OpenCL C
    .language_version:
      - 2
      - 0
    .max_flat_workgroup_size: 256
    .name:           _Z6kernelI14subtract_rightLj256ELj3ELb1EJPdS1_jEEvDpT3_
    .private_segment_fixed_size: 0
    .sgpr_count:     12
    .sgpr_spill_count: 0
    .symbol:         _Z6kernelI14subtract_rightLj256ELj3ELb1EJPdS1_jEEvDpT3_.kd
    .uniform_work_group_size: 1
    .uses_dynamic_stack: false
    .vgpr_count:     14
    .vgpr_spill_count: 0
    .wavefront_size: 64
  - .agpr_count:     0
    .args:
      - .address_space:  global
        .offset:         0
        .size:           8
        .value_kind:     global_buffer
      - .address_space:  global
        .offset:         8
        .size:           8
        .value_kind:     global_buffer
      - .offset:         16
        .size:           4
        .value_kind:     by_value
    .group_segment_fixed_size: 4096
    .kernarg_segment_align: 8
    .kernarg_segment_size: 20
    .language:       OpenCL C
    .language_version:
      - 2
      - 0
    .max_flat_workgroup_size: 256
    .name:           _Z6kernelI14subtract_rightLj256ELj4ELb1EJPdS1_jEEvDpT3_
    .private_segment_fixed_size: 0
    .sgpr_count:     12
    .sgpr_spill_count: 0
    .symbol:         _Z6kernelI14subtract_rightLj256ELj4ELb1EJPdS1_jEEvDpT3_.kd
    .uniform_work_group_size: 1
    .uses_dynamic_stack: false
    .vgpr_count:     18
    .vgpr_spill_count: 0
    .wavefront_size: 64
  - .agpr_count:     0
    .args:
      - .address_space:  global
        .offset:         0
        .size:           8
        .value_kind:     global_buffer
      - .address_space:  global
        .offset:         8
        .size:           8
        .value_kind:     global_buffer
      - .offset:         16
        .size:           4
        .value_kind:     by_value
    .group_segment_fixed_size: 4096
    .kernarg_segment_align: 8
    .kernarg_segment_size: 20
    .language:       OpenCL C
    .language_version:
      - 2
      - 0
    .max_flat_workgroup_size: 256
    .name:           _Z6kernelI14subtract_rightLj256ELj8ELb1EJPdS1_jEEvDpT3_
    .private_segment_fixed_size: 0
    .sgpr_count:     12
    .sgpr_spill_count: 0
    .symbol:         _Z6kernelI14subtract_rightLj256ELj8ELb1EJPdS1_jEEvDpT3_.kd
    .uniform_work_group_size: 1
    .uses_dynamic_stack: false
    .vgpr_count:     34
    .vgpr_spill_count: 0
    .wavefront_size: 64
  - .agpr_count:     0
    .args:
      - .address_space:  global
        .offset:         0
        .size:           8
        .value_kind:     global_buffer
      - .address_space:  global
        .offset:         8
        .size:           8
        .value_kind:     global_buffer
      - .offset:         16
        .size:           4
        .value_kind:     by_value
    .group_segment_fixed_size: 4096
    .kernarg_segment_align: 8
    .kernarg_segment_size: 20
    .language:       OpenCL C
    .language_version:
      - 2
      - 0
    .max_flat_workgroup_size: 256
    .name:           _Z6kernelI14subtract_rightLj256ELj16ELb1EJPdS1_jEEvDpT3_
    .private_segment_fixed_size: 0
    .sgpr_count:     12
    .sgpr_spill_count: 0
    .symbol:         _Z6kernelI14subtract_rightLj256ELj16ELb1EJPdS1_jEEvDpT3_.kd
    .uniform_work_group_size: 1
    .uses_dynamic_stack: false
    .vgpr_count:     62
    .vgpr_spill_count: 0
    .wavefront_size: 64
  - .agpr_count:     0
    .args:
      - .address_space:  global
        .offset:         0
        .size:           8
        .value_kind:     global_buffer
      - .address_space:  global
        .offset:         8
        .size:           8
        .value_kind:     global_buffer
      - .offset:         16
        .size:           4
        .value_kind:     by_value
    .group_segment_fixed_size: 4096
    .kernarg_segment_align: 8
    .kernarg_segment_size: 20
    .language:       OpenCL C
    .language_version:
      - 2
      - 0
    .max_flat_workgroup_size: 256
    .name:           _Z6kernelI14subtract_rightLj256ELj32ELb1EJPdS1_jEEvDpT3_
    .private_segment_fixed_size: 0
    .sgpr_count:     12
    .sgpr_spill_count: 0
    .symbol:         _Z6kernelI14subtract_rightLj256ELj32ELb1EJPdS1_jEEvDpT3_.kd
    .uniform_work_group_size: 1
    .uses_dynamic_stack: false
    .vgpr_count:     80
    .vgpr_spill_count: 0
    .wavefront_size: 64
  - .agpr_count:     0
    .args:
      - .address_space:  global
        .offset:         0
        .size:           8
        .value_kind:     global_buffer
      - .address_space:  global
        .offset:         8
        .size:           8
        .value_kind:     global_buffer
      - .address_space:  global
        .offset:         16
        .size:           8
        .value_kind:     global_buffer
      - .offset:         24
        .size:           4
        .value_kind:     by_value
    .group_segment_fixed_size: 2048
    .kernarg_segment_align: 8
    .kernarg_segment_size: 28
    .language:       OpenCL C
    .language_version:
      - 2
      - 0
    .max_flat_workgroup_size: 256
    .name:           _Z6kernelI26subtract_left_partial_tileLj256ELj1ELb0EJPiS1_S1_jEEvDpT3_
    .private_segment_fixed_size: 0
    .sgpr_count:     20
    .sgpr_spill_count: 0
    .symbol:         _Z6kernelI26subtract_left_partial_tileLj256ELj1ELb0EJPiS1_S1_jEEvDpT3_.kd
    .uniform_work_group_size: 1
    .uses_dynamic_stack: false
    .vgpr_count:     5
    .vgpr_spill_count: 0
    .wavefront_size: 64
  - .agpr_count:     0
    .args:
      - .address_space:  global
        .offset:         0
        .size:           8
        .value_kind:     global_buffer
      - .address_space:  global
        .offset:         8
        .size:           8
        .value_kind:     global_buffer
      - .address_space:  global
        .offset:         16
        .size:           8
        .value_kind:     global_buffer
      - .offset:         24
        .size:           4
        .value_kind:     by_value
    .group_segment_fixed_size: 2048
    .kernarg_segment_align: 8
    .kernarg_segment_size: 28
    .language:       OpenCL C
    .language_version:
      - 2
      - 0
    .max_flat_workgroup_size: 256
    .name:           _Z6kernelI26subtract_left_partial_tileLj256ELj3ELb0EJPiS1_S1_jEEvDpT3_
    .private_segment_fixed_size: 0
    .sgpr_count:     20
    .sgpr_spill_count: 0
    .symbol:         _Z6kernelI26subtract_left_partial_tileLj256ELj3ELb0EJPiS1_S1_jEEvDpT3_.kd
    .uniform_work_group_size: 1
    .uses_dynamic_stack: false
    .vgpr_count:     12
    .vgpr_spill_count: 0
    .wavefront_size: 64
  - .agpr_count:     0
    .args:
      - .address_space:  global
        .offset:         0
        .size:           8
        .value_kind:     global_buffer
      - .address_space:  global
        .offset:         8
        .size:           8
        .value_kind:     global_buffer
      - .address_space:  global
        .offset:         16
        .size:           8
        .value_kind:     global_buffer
      - .offset:         24
        .size:           4
        .value_kind:     by_value
    .group_segment_fixed_size: 2048
    .kernarg_segment_align: 8
    .kernarg_segment_size: 28
    .language:       OpenCL C
    .language_version:
      - 2
      - 0
    .max_flat_workgroup_size: 256
    .name:           _Z6kernelI26subtract_left_partial_tileLj256ELj4ELb0EJPiS1_S1_jEEvDpT3_
    .private_segment_fixed_size: 0
    .sgpr_count:     20
    .sgpr_spill_count: 0
    .symbol:         _Z6kernelI26subtract_left_partial_tileLj256ELj4ELb0EJPiS1_S1_jEEvDpT3_.kd
    .uniform_work_group_size: 1
    .uses_dynamic_stack: false
    .vgpr_count:     14
    .vgpr_spill_count: 0
    .wavefront_size: 64
  - .agpr_count:     0
    .args:
      - .address_space:  global
        .offset:         0
        .size:           8
        .value_kind:     global_buffer
      - .address_space:  global
        .offset:         8
        .size:           8
        .value_kind:     global_buffer
      - .address_space:  global
        .offset:         16
        .size:           8
        .value_kind:     global_buffer
      - .offset:         24
        .size:           4
        .value_kind:     by_value
    .group_segment_fixed_size: 2048
    .kernarg_segment_align: 8
    .kernarg_segment_size: 28
    .language:       OpenCL C
    .language_version:
      - 2
      - 0
    .max_flat_workgroup_size: 256
    .name:           _Z6kernelI26subtract_left_partial_tileLj256ELj8ELb0EJPiS1_S1_jEEvDpT3_
    .private_segment_fixed_size: 0
    .sgpr_count:     18
    .sgpr_spill_count: 0
    .symbol:         _Z6kernelI26subtract_left_partial_tileLj256ELj8ELb0EJPiS1_S1_jEEvDpT3_.kd
    .uniform_work_group_size: 1
    .uses_dynamic_stack: false
    .vgpr_count:     27
    .vgpr_spill_count: 0
    .wavefront_size: 64
  - .agpr_count:     0
    .args:
      - .address_space:  global
        .offset:         0
        .size:           8
        .value_kind:     global_buffer
      - .address_space:  global
        .offset:         8
        .size:           8
        .value_kind:     global_buffer
      - .address_space:  global
        .offset:         16
        .size:           8
        .value_kind:     global_buffer
      - .offset:         24
        .size:           4
        .value_kind:     by_value
    .group_segment_fixed_size: 2048
    .kernarg_segment_align: 8
    .kernarg_segment_size: 28
    .language:       OpenCL C
    .language_version:
      - 2
      - 0
    .max_flat_workgroup_size: 256
    .name:           _Z6kernelI26subtract_left_partial_tileLj256ELj16ELb0EJPiS1_S1_jEEvDpT3_
    .private_segment_fixed_size: 0
    .sgpr_count:     18
    .sgpr_spill_count: 0
    .symbol:         _Z6kernelI26subtract_left_partial_tileLj256ELj16ELb0EJPiS1_S1_jEEvDpT3_.kd
    .uniform_work_group_size: 1
    .uses_dynamic_stack: false
    .vgpr_count:     51
    .vgpr_spill_count: 0
    .wavefront_size: 64
  - .agpr_count:     0
    .args:
      - .address_space:  global
        .offset:         0
        .size:           8
        .value_kind:     global_buffer
      - .address_space:  global
        .offset:         8
        .size:           8
        .value_kind:     global_buffer
      - .address_space:  global
        .offset:         16
        .size:           8
        .value_kind:     global_buffer
      - .offset:         24
        .size:           4
        .value_kind:     by_value
    .group_segment_fixed_size: 2048
    .kernarg_segment_align: 8
    .kernarg_segment_size: 28
    .language:       OpenCL C
    .language_version:
      - 2
      - 0
    .max_flat_workgroup_size: 256
    .name:           _Z6kernelI26subtract_left_partial_tileLj256ELj32ELb0EJPiS1_S1_jEEvDpT3_
    .private_segment_fixed_size: 0
    .sgpr_count:     18
    .sgpr_spill_count: 0
    .symbol:         _Z6kernelI26subtract_left_partial_tileLj256ELj32ELb0EJPiS1_S1_jEEvDpT3_.kd
    .uniform_work_group_size: 1
    .uses_dynamic_stack: false
    .vgpr_count:     69
    .vgpr_spill_count: 0
    .wavefront_size: 64
  - .agpr_count:     0
    .args:
      - .address_space:  global
        .offset:         0
        .size:           8
        .value_kind:     global_buffer
      - .address_space:  global
        .offset:         8
        .size:           8
        .value_kind:     global_buffer
      - .address_space:  global
        .offset:         16
        .size:           8
        .value_kind:     global_buffer
      - .offset:         24
        .size:           4
        .value_kind:     by_value
    .group_segment_fixed_size: 2048
    .kernarg_segment_align: 8
    .kernarg_segment_size: 28
    .language:       OpenCL C
    .language_version:
      - 2
      - 0
    .max_flat_workgroup_size: 256
    .name:           _Z6kernelI26subtract_left_partial_tileLj256ELj1ELb0EJPfPiS1_jEEvDpT3_
    .private_segment_fixed_size: 0
    .sgpr_count:     20
    .sgpr_spill_count: 0
    .symbol:         _Z6kernelI26subtract_left_partial_tileLj256ELj1ELb0EJPfPiS1_jEEvDpT3_.kd
    .uniform_work_group_size: 1
    .uses_dynamic_stack: false
    .vgpr_count:     5
    .vgpr_spill_count: 0
    .wavefront_size: 64
  - .agpr_count:     0
    .args:
      - .address_space:  global
        .offset:         0
        .size:           8
        .value_kind:     global_buffer
      - .address_space:  global
        .offset:         8
        .size:           8
        .value_kind:     global_buffer
      - .address_space:  global
        .offset:         16
        .size:           8
        .value_kind:     global_buffer
      - .offset:         24
        .size:           4
        .value_kind:     by_value
    .group_segment_fixed_size: 2048
    .kernarg_segment_align: 8
    .kernarg_segment_size: 28
    .language:       OpenCL C
    .language_version:
      - 2
      - 0
    .max_flat_workgroup_size: 256
    .name:           _Z6kernelI26subtract_left_partial_tileLj256ELj3ELb0EJPfPiS1_jEEvDpT3_
    .private_segment_fixed_size: 0
    .sgpr_count:     20
    .sgpr_spill_count: 0
    .symbol:         _Z6kernelI26subtract_left_partial_tileLj256ELj3ELb0EJPfPiS1_jEEvDpT3_.kd
    .uniform_work_group_size: 1
    .uses_dynamic_stack: false
    .vgpr_count:     14
    .vgpr_spill_count: 0
    .wavefront_size: 64
  - .agpr_count:     0
    .args:
      - .address_space:  global
        .offset:         0
        .size:           8
        .value_kind:     global_buffer
      - .address_space:  global
        .offset:         8
        .size:           8
        .value_kind:     global_buffer
      - .address_space:  global
        .offset:         16
        .size:           8
        .value_kind:     global_buffer
      - .offset:         24
        .size:           4
        .value_kind:     by_value
    .group_segment_fixed_size: 2048
    .kernarg_segment_align: 8
    .kernarg_segment_size: 28
    .language:       OpenCL C
    .language_version:
      - 2
      - 0
    .max_flat_workgroup_size: 256
    .name:           _Z6kernelI26subtract_left_partial_tileLj256ELj4ELb0EJPfPiS1_jEEvDpT3_
    .private_segment_fixed_size: 0
    .sgpr_count:     20
    .sgpr_spill_count: 0
    .symbol:         _Z6kernelI26subtract_left_partial_tileLj256ELj4ELb0EJPfPiS1_jEEvDpT3_.kd
    .uniform_work_group_size: 1
    .uses_dynamic_stack: false
    .vgpr_count:     17
    .vgpr_spill_count: 0
    .wavefront_size: 64
  - .agpr_count:     0
    .args:
      - .address_space:  global
        .offset:         0
        .size:           8
        .value_kind:     global_buffer
      - .address_space:  global
        .offset:         8
        .size:           8
        .value_kind:     global_buffer
      - .address_space:  global
        .offset:         16
        .size:           8
        .value_kind:     global_buffer
      - .offset:         24
        .size:           4
        .value_kind:     by_value
    .group_segment_fixed_size: 2048
    .kernarg_segment_align: 8
    .kernarg_segment_size: 28
    .language:       OpenCL C
    .language_version:
      - 2
      - 0
    .max_flat_workgroup_size: 256
    .name:           _Z6kernelI26subtract_left_partial_tileLj256ELj8ELb0EJPfPiS1_jEEvDpT3_
    .private_segment_fixed_size: 0
    .sgpr_count:     18
    .sgpr_spill_count: 0
    .symbol:         _Z6kernelI26subtract_left_partial_tileLj256ELj8ELb0EJPfPiS1_jEEvDpT3_.kd
    .uniform_work_group_size: 1
    .uses_dynamic_stack: false
    .vgpr_count:     32
    .vgpr_spill_count: 0
    .wavefront_size: 64
  - .agpr_count:     0
    .args:
      - .address_space:  global
        .offset:         0
        .size:           8
        .value_kind:     global_buffer
      - .address_space:  global
        .offset:         8
        .size:           8
        .value_kind:     global_buffer
      - .address_space:  global
        .offset:         16
        .size:           8
        .value_kind:     global_buffer
      - .offset:         24
        .size:           4
        .value_kind:     by_value
    .group_segment_fixed_size: 2048
    .kernarg_segment_align: 8
    .kernarg_segment_size: 28
    .language:       OpenCL C
    .language_version:
      - 2
      - 0
    .max_flat_workgroup_size: 256
    .name:           _Z6kernelI26subtract_left_partial_tileLj256ELj16ELb0EJPfPiS1_jEEvDpT3_
    .private_segment_fixed_size: 0
    .sgpr_count:     18
    .sgpr_spill_count: 0
    .symbol:         _Z6kernelI26subtract_left_partial_tileLj256ELj16ELb0EJPfPiS1_jEEvDpT3_.kd
    .uniform_work_group_size: 1
    .uses_dynamic_stack: false
    .vgpr_count:     52
    .vgpr_spill_count: 0
    .wavefront_size: 64
  - .agpr_count:     0
    .args:
      - .address_space:  global
        .offset:         0
        .size:           8
        .value_kind:     global_buffer
      - .address_space:  global
        .offset:         8
        .size:           8
        .value_kind:     global_buffer
      - .address_space:  global
        .offset:         16
        .size:           8
        .value_kind:     global_buffer
      - .offset:         24
        .size:           4
        .value_kind:     by_value
    .group_segment_fixed_size: 2048
    .kernarg_segment_align: 8
    .kernarg_segment_size: 28
    .language:       OpenCL C
    .language_version:
      - 2
      - 0
    .max_flat_workgroup_size: 256
    .name:           _Z6kernelI26subtract_left_partial_tileLj256ELj32ELb0EJPfPiS1_jEEvDpT3_
    .private_segment_fixed_size: 0
    .sgpr_count:     18
    .sgpr_spill_count: 0
    .symbol:         _Z6kernelI26subtract_left_partial_tileLj256ELj32ELb0EJPfPiS1_jEEvDpT3_.kd
    .uniform_work_group_size: 1
    .uses_dynamic_stack: false
    .vgpr_count:     100
    .vgpr_spill_count: 0
    .wavefront_size: 64
  - .agpr_count:     0
    .args:
      - .address_space:  global
        .offset:         0
        .size:           8
        .value_kind:     global_buffer
      - .address_space:  global
        .offset:         8
        .size:           8
        .value_kind:     global_buffer
      - .address_space:  global
        .offset:         16
        .size:           8
        .value_kind:     global_buffer
      - .offset:         24
        .size:           4
        .value_kind:     by_value
    .group_segment_fixed_size: 512
    .kernarg_segment_align: 8
    .kernarg_segment_size: 28
    .language:       OpenCL C
    .language_version:
      - 2
      - 0
    .max_flat_workgroup_size: 256
    .name:           _Z6kernelI26subtract_left_partial_tileLj256ELj1ELb0EJPaPiS1_jEEvDpT3_
    .private_segment_fixed_size: 0
    .sgpr_count:     20
    .sgpr_spill_count: 0
    .symbol:         _Z6kernelI26subtract_left_partial_tileLj256ELj1ELb0EJPaPiS1_jEEvDpT3_.kd
    .uniform_work_group_size: 1
    .uses_dynamic_stack: false
    .vgpr_count:     4
    .vgpr_spill_count: 0
    .wavefront_size: 64
  - .agpr_count:     0
    .args:
      - .address_space:  global
        .offset:         0
        .size:           8
        .value_kind:     global_buffer
      - .address_space:  global
        .offset:         8
        .size:           8
        .value_kind:     global_buffer
      - .address_space:  global
        .offset:         16
        .size:           8
        .value_kind:     global_buffer
      - .offset:         24
        .size:           4
        .value_kind:     by_value
    .group_segment_fixed_size: 512
    .kernarg_segment_align: 8
    .kernarg_segment_size: 28
    .language:       OpenCL C
    .language_version:
      - 2
      - 0
    .max_flat_workgroup_size: 256
    .name:           _Z6kernelI26subtract_left_partial_tileLj256ELj3ELb0EJPaPiS1_jEEvDpT3_
    .private_segment_fixed_size: 0
    .sgpr_count:     18
    .sgpr_spill_count: 0
    .symbol:         _Z6kernelI26subtract_left_partial_tileLj256ELj3ELb0EJPaPiS1_jEEvDpT3_.kd
    .uniform_work_group_size: 1
    .uses_dynamic_stack: false
    .vgpr_count:     13
    .vgpr_spill_count: 0
    .wavefront_size: 64
  - .agpr_count:     0
    .args:
      - .address_space:  global
        .offset:         0
        .size:           8
        .value_kind:     global_buffer
      - .address_space:  global
        .offset:         8
        .size:           8
        .value_kind:     global_buffer
      - .address_space:  global
        .offset:         16
        .size:           8
        .value_kind:     global_buffer
      - .offset:         24
        .size:           4
        .value_kind:     by_value
    .group_segment_fixed_size: 512
    .kernarg_segment_align: 8
    .kernarg_segment_size: 28
    .language:       OpenCL C
    .language_version:
      - 2
      - 0
    .max_flat_workgroup_size: 256
    .name:           _Z6kernelI26subtract_left_partial_tileLj256ELj4ELb0EJPaPiS1_jEEvDpT3_
    .private_segment_fixed_size: 0
    .sgpr_count:     15
    .sgpr_spill_count: 0
    .symbol:         _Z6kernelI26subtract_left_partial_tileLj256ELj4ELb0EJPaPiS1_jEEvDpT3_.kd
    .uniform_work_group_size: 1
    .uses_dynamic_stack: false
    .vgpr_count:     15
    .vgpr_spill_count: 0
    .wavefront_size: 64
  - .agpr_count:     0
    .args:
      - .address_space:  global
        .offset:         0
        .size:           8
        .value_kind:     global_buffer
      - .address_space:  global
        .offset:         8
        .size:           8
        .value_kind:     global_buffer
      - .address_space:  global
        .offset:         16
        .size:           8
        .value_kind:     global_buffer
      - .offset:         24
        .size:           4
        .value_kind:     by_value
    .group_segment_fixed_size: 512
    .kernarg_segment_align: 8
    .kernarg_segment_size: 28
    .language:       OpenCL C
    .language_version:
      - 2
      - 0
    .max_flat_workgroup_size: 256
    .name:           _Z6kernelI26subtract_left_partial_tileLj256ELj8ELb0EJPaPiS1_jEEvDpT3_
    .private_segment_fixed_size: 0
    .sgpr_count:     18
    .sgpr_spill_count: 0
    .symbol:         _Z6kernelI26subtract_left_partial_tileLj256ELj8ELb0EJPaPiS1_jEEvDpT3_.kd
    .uniform_work_group_size: 1
    .uses_dynamic_stack: false
    .vgpr_count:     25
    .vgpr_spill_count: 0
    .wavefront_size: 64
  - .agpr_count:     0
    .args:
      - .address_space:  global
        .offset:         0
        .size:           8
        .value_kind:     global_buffer
      - .address_space:  global
        .offset:         8
        .size:           8
        .value_kind:     global_buffer
      - .address_space:  global
        .offset:         16
        .size:           8
        .value_kind:     global_buffer
      - .offset:         24
        .size:           4
        .value_kind:     by_value
    .group_segment_fixed_size: 512
    .kernarg_segment_align: 8
    .kernarg_segment_size: 28
    .language:       OpenCL C
    .language_version:
      - 2
      - 0
    .max_flat_workgroup_size: 256
    .name:           _Z6kernelI26subtract_left_partial_tileLj256ELj16ELb0EJPaPiS1_jEEvDpT3_
    .private_segment_fixed_size: 0
    .sgpr_count:     18
    .sgpr_spill_count: 0
    .symbol:         _Z6kernelI26subtract_left_partial_tileLj256ELj16ELb0EJPaPiS1_jEEvDpT3_.kd
    .uniform_work_group_size: 1
    .uses_dynamic_stack: false
    .vgpr_count:     46
    .vgpr_spill_count: 0
    .wavefront_size: 64
  - .agpr_count:     0
    .args:
      - .address_space:  global
        .offset:         0
        .size:           8
        .value_kind:     global_buffer
      - .address_space:  global
        .offset:         8
        .size:           8
        .value_kind:     global_buffer
      - .address_space:  global
        .offset:         16
        .size:           8
        .value_kind:     global_buffer
      - .offset:         24
        .size:           4
        .value_kind:     by_value
    .group_segment_fixed_size: 512
    .kernarg_segment_align: 8
    .kernarg_segment_size: 28
    .language:       OpenCL C
    .language_version:
      - 2
      - 0
    .max_flat_workgroup_size: 256
    .name:           _Z6kernelI26subtract_left_partial_tileLj256ELj32ELb0EJPaPiS1_jEEvDpT3_
    .private_segment_fixed_size: 0
    .sgpr_count:     15
    .sgpr_spill_count: 0
    .symbol:         _Z6kernelI26subtract_left_partial_tileLj256ELj32ELb0EJPaPiS1_jEEvDpT3_.kd
    .uniform_work_group_size: 1
    .uses_dynamic_stack: false
    .vgpr_count:     71
    .vgpr_spill_count: 0
    .wavefront_size: 64
  - .agpr_count:     0
    .args:
      - .address_space:  global
        .offset:         0
        .size:           8
        .value_kind:     global_buffer
      - .address_space:  global
        .offset:         8
        .size:           8
        .value_kind:     global_buffer
      - .address_space:  global
        .offset:         16
        .size:           8
        .value_kind:     global_buffer
      - .offset:         24
        .size:           4
        .value_kind:     by_value
    .group_segment_fixed_size: 4096
    .kernarg_segment_align: 8
    .kernarg_segment_size: 28
    .language:       OpenCL C
    .language_version:
      - 2
      - 0
    .max_flat_workgroup_size: 256
    .name:           _Z6kernelI26subtract_left_partial_tileLj256ELj1ELb0EJPxPiS1_jEEvDpT3_
    .private_segment_fixed_size: 0
    .sgpr_count:     20
    .sgpr_spill_count: 0
    .symbol:         _Z6kernelI26subtract_left_partial_tileLj256ELj1ELb0EJPxPiS1_jEEvDpT3_.kd
    .uniform_work_group_size: 1
    .uses_dynamic_stack: false
    .vgpr_count:     7
    .vgpr_spill_count: 0
    .wavefront_size: 64
  - .agpr_count:     0
    .args:
      - .address_space:  global
        .offset:         0
        .size:           8
        .value_kind:     global_buffer
      - .address_space:  global
        .offset:         8
        .size:           8
        .value_kind:     global_buffer
      - .address_space:  global
        .offset:         16
        .size:           8
        .value_kind:     global_buffer
      - .offset:         24
        .size:           4
        .value_kind:     by_value
    .group_segment_fixed_size: 4096
    .kernarg_segment_align: 8
    .kernarg_segment_size: 28
    .language:       OpenCL C
    .language_version:
      - 2
      - 0
    .max_flat_workgroup_size: 256
    .name:           _Z6kernelI26subtract_left_partial_tileLj256ELj3ELb0EJPxPiS1_jEEvDpT3_
    .private_segment_fixed_size: 0
    .sgpr_count:     18
    .sgpr_spill_count: 0
    .symbol:         _Z6kernelI26subtract_left_partial_tileLj256ELj3ELb0EJPxPiS1_jEEvDpT3_.kd
    .uniform_work_group_size: 1
    .uses_dynamic_stack: false
    .vgpr_count:     18
    .vgpr_spill_count: 0
    .wavefront_size: 64
  - .agpr_count:     0
    .args:
      - .address_space:  global
        .offset:         0
        .size:           8
        .value_kind:     global_buffer
      - .address_space:  global
        .offset:         8
        .size:           8
        .value_kind:     global_buffer
      - .address_space:  global
        .offset:         16
        .size:           8
        .value_kind:     global_buffer
      - .offset:         24
        .size:           4
        .value_kind:     by_value
    .group_segment_fixed_size: 4096
    .kernarg_segment_align: 8
    .kernarg_segment_size: 28
    .language:       OpenCL C
    .language_version:
      - 2
      - 0
    .max_flat_workgroup_size: 256
    .name:           _Z6kernelI26subtract_left_partial_tileLj256ELj4ELb0EJPxPiS1_jEEvDpT3_
    .private_segment_fixed_size: 0
    .sgpr_count:     18
    .sgpr_spill_count: 0
    .symbol:         _Z6kernelI26subtract_left_partial_tileLj256ELj4ELb0EJPxPiS1_jEEvDpT3_.kd
    .uniform_work_group_size: 1
    .uses_dynamic_stack: false
    .vgpr_count:     23
    .vgpr_spill_count: 0
    .wavefront_size: 64
  - .agpr_count:     0
    .args:
      - .address_space:  global
        .offset:         0
        .size:           8
        .value_kind:     global_buffer
      - .address_space:  global
        .offset:         8
        .size:           8
        .value_kind:     global_buffer
      - .address_space:  global
        .offset:         16
        .size:           8
        .value_kind:     global_buffer
      - .offset:         24
        .size:           4
        .value_kind:     by_value
    .group_segment_fixed_size: 4096
    .kernarg_segment_align: 8
    .kernarg_segment_size: 28
    .language:       OpenCL C
    .language_version:
      - 2
      - 0
    .max_flat_workgroup_size: 256
    .name:           _Z6kernelI26subtract_left_partial_tileLj256ELj8ELb0EJPxPiS1_jEEvDpT3_
    .private_segment_fixed_size: 0
    .sgpr_count:     18
    .sgpr_spill_count: 0
    .symbol:         _Z6kernelI26subtract_left_partial_tileLj256ELj8ELb0EJPxPiS1_jEEvDpT3_.kd
    .uniform_work_group_size: 1
    .uses_dynamic_stack: false
    .vgpr_count:     42
    .vgpr_spill_count: 0
    .wavefront_size: 64
  - .agpr_count:     0
    .args:
      - .address_space:  global
        .offset:         0
        .size:           8
        .value_kind:     global_buffer
      - .address_space:  global
        .offset:         8
        .size:           8
        .value_kind:     global_buffer
      - .address_space:  global
        .offset:         16
        .size:           8
        .value_kind:     global_buffer
      - .offset:         24
        .size:           4
        .value_kind:     by_value
    .group_segment_fixed_size: 4096
    .kernarg_segment_align: 8
    .kernarg_segment_size: 28
    .language:       OpenCL C
    .language_version:
      - 2
      - 0
    .max_flat_workgroup_size: 256
    .name:           _Z6kernelI26subtract_left_partial_tileLj256ELj16ELb0EJPxPiS1_jEEvDpT3_
    .private_segment_fixed_size: 0
    .sgpr_count:     25
    .sgpr_spill_count: 0
    .symbol:         _Z6kernelI26subtract_left_partial_tileLj256ELj16ELb0EJPxPiS1_jEEvDpT3_.kd
    .uniform_work_group_size: 1
    .uses_dynamic_stack: false
    .vgpr_count:     57
    .vgpr_spill_count: 0
    .wavefront_size: 64
  - .agpr_count:     0
    .args:
      - .address_space:  global
        .offset:         0
        .size:           8
        .value_kind:     global_buffer
      - .address_space:  global
        .offset:         8
        .size:           8
        .value_kind:     global_buffer
      - .address_space:  global
        .offset:         16
        .size:           8
        .value_kind:     global_buffer
      - .offset:         24
        .size:           4
        .value_kind:     by_value
    .group_segment_fixed_size: 4096
    .kernarg_segment_align: 8
    .kernarg_segment_size: 28
    .language:       OpenCL C
    .language_version:
      - 2
      - 0
    .max_flat_workgroup_size: 256
    .name:           _Z6kernelI26subtract_left_partial_tileLj256ELj32ELb0EJPxPiS1_jEEvDpT3_
    .private_segment_fixed_size: 0
    .sgpr_count:     18
    .sgpr_spill_count: 0
    .symbol:         _Z6kernelI26subtract_left_partial_tileLj256ELj32ELb0EJPxPiS1_jEEvDpT3_.kd
    .uniform_work_group_size: 1
    .uses_dynamic_stack: false
    .vgpr_count:     122
    .vgpr_spill_count: 0
    .wavefront_size: 64
  - .agpr_count:     0
    .args:
      - .address_space:  global
        .offset:         0
        .size:           8
        .value_kind:     global_buffer
      - .address_space:  global
        .offset:         8
        .size:           8
        .value_kind:     global_buffer
      - .address_space:  global
        .offset:         16
        .size:           8
        .value_kind:     global_buffer
      - .offset:         24
        .size:           4
        .value_kind:     by_value
    .group_segment_fixed_size: 4096
    .kernarg_segment_align: 8
    .kernarg_segment_size: 28
    .language:       OpenCL C
    .language_version:
      - 2
      - 0
    .max_flat_workgroup_size: 256
    .name:           _Z6kernelI26subtract_left_partial_tileLj256ELj1ELb0EJPdPiS1_jEEvDpT3_
    .private_segment_fixed_size: 0
    .sgpr_count:     20
    .sgpr_spill_count: 0
    .symbol:         _Z6kernelI26subtract_left_partial_tileLj256ELj1ELb0EJPdPiS1_jEEvDpT3_.kd
    .uniform_work_group_size: 1
    .uses_dynamic_stack: false
    .vgpr_count:     7
    .vgpr_spill_count: 0
    .wavefront_size: 64
  - .agpr_count:     0
    .args:
      - .address_space:  global
        .offset:         0
        .size:           8
        .value_kind:     global_buffer
      - .address_space:  global
        .offset:         8
        .size:           8
        .value_kind:     global_buffer
      - .address_space:  global
        .offset:         16
        .size:           8
        .value_kind:     global_buffer
      - .offset:         24
        .size:           4
        .value_kind:     by_value
    .group_segment_fixed_size: 4096
    .kernarg_segment_align: 8
    .kernarg_segment_size: 28
    .language:       OpenCL C
    .language_version:
      - 2
      - 0
    .max_flat_workgroup_size: 256
    .name:           _Z6kernelI26subtract_left_partial_tileLj256ELj3ELb0EJPdPiS1_jEEvDpT3_
    .private_segment_fixed_size: 0
    .sgpr_count:     18
    .sgpr_spill_count: 0
    .symbol:         _Z6kernelI26subtract_left_partial_tileLj256ELj3ELb0EJPdPiS1_jEEvDpT3_.kd
    .uniform_work_group_size: 1
    .uses_dynamic_stack: false
    .vgpr_count:     18
    .vgpr_spill_count: 0
    .wavefront_size: 64
  - .agpr_count:     0
    .args:
      - .address_space:  global
        .offset:         0
        .size:           8
        .value_kind:     global_buffer
      - .address_space:  global
        .offset:         8
        .size:           8
        .value_kind:     global_buffer
      - .address_space:  global
        .offset:         16
        .size:           8
        .value_kind:     global_buffer
      - .offset:         24
        .size:           4
        .value_kind:     by_value
    .group_segment_fixed_size: 4096
    .kernarg_segment_align: 8
    .kernarg_segment_size: 28
    .language:       OpenCL C
    .language_version:
      - 2
      - 0
    .max_flat_workgroup_size: 256
    .name:           _Z6kernelI26subtract_left_partial_tileLj256ELj4ELb0EJPdPiS1_jEEvDpT3_
    .private_segment_fixed_size: 0
    .sgpr_count:     18
    .sgpr_spill_count: 0
    .symbol:         _Z6kernelI26subtract_left_partial_tileLj256ELj4ELb0EJPdPiS1_jEEvDpT3_.kd
    .uniform_work_group_size: 1
    .uses_dynamic_stack: false
    .vgpr_count:     24
    .vgpr_spill_count: 0
    .wavefront_size: 64
  - .agpr_count:     0
    .args:
      - .address_space:  global
        .offset:         0
        .size:           8
        .value_kind:     global_buffer
      - .address_space:  global
        .offset:         8
        .size:           8
        .value_kind:     global_buffer
      - .address_space:  global
        .offset:         16
        .size:           8
        .value_kind:     global_buffer
      - .offset:         24
        .size:           4
        .value_kind:     by_value
    .group_segment_fixed_size: 4096
    .kernarg_segment_align: 8
    .kernarg_segment_size: 28
    .language:       OpenCL C
    .language_version:
      - 2
      - 0
    .max_flat_workgroup_size: 256
    .name:           _Z6kernelI26subtract_left_partial_tileLj256ELj8ELb0EJPdPiS1_jEEvDpT3_
    .private_segment_fixed_size: 0
    .sgpr_count:     18
    .sgpr_spill_count: 0
    .symbol:         _Z6kernelI26subtract_left_partial_tileLj256ELj8ELb0EJPdPiS1_jEEvDpT3_.kd
    .uniform_work_group_size: 1
    .uses_dynamic_stack: false
    .vgpr_count:     42
    .vgpr_spill_count: 0
    .wavefront_size: 64
  - .agpr_count:     0
    .args:
      - .address_space:  global
        .offset:         0
        .size:           8
        .value_kind:     global_buffer
      - .address_space:  global
        .offset:         8
        .size:           8
        .value_kind:     global_buffer
      - .address_space:  global
        .offset:         16
        .size:           8
        .value_kind:     global_buffer
      - .offset:         24
        .size:           4
        .value_kind:     by_value
    .group_segment_fixed_size: 4096
    .kernarg_segment_align: 8
    .kernarg_segment_size: 28
    .language:       OpenCL C
    .language_version:
      - 2
      - 0
    .max_flat_workgroup_size: 256
    .name:           _Z6kernelI26subtract_left_partial_tileLj256ELj16ELb0EJPdPiS1_jEEvDpT3_
    .private_segment_fixed_size: 0
    .sgpr_count:     18
    .sgpr_spill_count: 0
    .symbol:         _Z6kernelI26subtract_left_partial_tileLj256ELj16ELb0EJPdPiS1_jEEvDpT3_.kd
    .uniform_work_group_size: 1
    .uses_dynamic_stack: false
    .vgpr_count:     84
    .vgpr_spill_count: 0
    .wavefront_size: 64
  - .agpr_count:     0
    .args:
      - .address_space:  global
        .offset:         0
        .size:           8
        .value_kind:     global_buffer
      - .address_space:  global
        .offset:         8
        .size:           8
        .value_kind:     global_buffer
      - .address_space:  global
        .offset:         16
        .size:           8
        .value_kind:     global_buffer
      - .offset:         24
        .size:           4
        .value_kind:     by_value
    .group_segment_fixed_size: 4096
    .kernarg_segment_align: 8
    .kernarg_segment_size: 28
    .language:       OpenCL C
    .language_version:
      - 2
      - 0
    .max_flat_workgroup_size: 256
    .name:           _Z6kernelI26subtract_left_partial_tileLj256ELj32ELb0EJPdPiS1_jEEvDpT3_
    .private_segment_fixed_size: 0
    .sgpr_count:     18
    .sgpr_spill_count: 0
    .symbol:         _Z6kernelI26subtract_left_partial_tileLj256ELj32ELb0EJPdPiS1_jEEvDpT3_.kd
    .uniform_work_group_size: 1
    .uses_dynamic_stack: false
    .vgpr_count:     164
    .vgpr_spill_count: 0
    .wavefront_size: 64
  - .agpr_count:     0
    .args:
      - .address_space:  global
        .offset:         0
        .size:           8
        .value_kind:     global_buffer
      - .address_space:  global
        .offset:         8
        .size:           8
        .value_kind:     global_buffer
      - .address_space:  global
        .offset:         16
        .size:           8
        .value_kind:     global_buffer
      - .offset:         24
        .size:           4
        .value_kind:     by_value
    .group_segment_fixed_size: 2048
    .kernarg_segment_align: 8
    .kernarg_segment_size: 28
    .language:       OpenCL C
    .language_version:
      - 2
      - 0
    .max_flat_workgroup_size: 256
    .name:           _Z6kernelI26subtract_left_partial_tileLj256ELj1ELb1EJPiS1_S1_jEEvDpT3_
    .private_segment_fixed_size: 0
    .sgpr_count:     20
    .sgpr_spill_count: 0
    .symbol:         _Z6kernelI26subtract_left_partial_tileLj256ELj1ELb1EJPiS1_S1_jEEvDpT3_.kd
    .uniform_work_group_size: 1
    .uses_dynamic_stack: false
    .vgpr_count:     5
    .vgpr_spill_count: 0
    .wavefront_size: 64
  - .agpr_count:     0
    .args:
      - .address_space:  global
        .offset:         0
        .size:           8
        .value_kind:     global_buffer
      - .address_space:  global
        .offset:         8
        .size:           8
        .value_kind:     global_buffer
      - .address_space:  global
        .offset:         16
        .size:           8
        .value_kind:     global_buffer
      - .offset:         24
        .size:           4
        .value_kind:     by_value
    .group_segment_fixed_size: 2048
    .kernarg_segment_align: 8
    .kernarg_segment_size: 28
    .language:       OpenCL C
    .language_version:
      - 2
      - 0
    .max_flat_workgroup_size: 256
    .name:           _Z6kernelI26subtract_left_partial_tileLj256ELj3ELb1EJPiS1_S1_jEEvDpT3_
    .private_segment_fixed_size: 0
    .sgpr_count:     20
    .sgpr_spill_count: 0
    .symbol:         _Z6kernelI26subtract_left_partial_tileLj256ELj3ELb1EJPiS1_S1_jEEvDpT3_.kd
    .uniform_work_group_size: 1
    .uses_dynamic_stack: false
    .vgpr_count:     12
    .vgpr_spill_count: 0
    .wavefront_size: 64
  - .agpr_count:     0
    .args:
      - .address_space:  global
        .offset:         0
        .size:           8
        .value_kind:     global_buffer
      - .address_space:  global
        .offset:         8
        .size:           8
        .value_kind:     global_buffer
      - .address_space:  global
        .offset:         16
        .size:           8
        .value_kind:     global_buffer
      - .offset:         24
        .size:           4
        .value_kind:     by_value
    .group_segment_fixed_size: 2048
    .kernarg_segment_align: 8
    .kernarg_segment_size: 28
    .language:       OpenCL C
    .language_version:
      - 2
      - 0
    .max_flat_workgroup_size: 256
    .name:           _Z6kernelI26subtract_left_partial_tileLj256ELj4ELb1EJPiS1_S1_jEEvDpT3_
    .private_segment_fixed_size: 0
    .sgpr_count:     20
    .sgpr_spill_count: 0
    .symbol:         _Z6kernelI26subtract_left_partial_tileLj256ELj4ELb1EJPiS1_S1_jEEvDpT3_.kd
    .uniform_work_group_size: 1
    .uses_dynamic_stack: false
    .vgpr_count:     14
    .vgpr_spill_count: 0
    .wavefront_size: 64
  - .agpr_count:     0
    .args:
      - .address_space:  global
        .offset:         0
        .size:           8
        .value_kind:     global_buffer
      - .address_space:  global
        .offset:         8
        .size:           8
        .value_kind:     global_buffer
      - .address_space:  global
        .offset:         16
        .size:           8
        .value_kind:     global_buffer
      - .offset:         24
        .size:           4
        .value_kind:     by_value
    .group_segment_fixed_size: 2048
    .kernarg_segment_align: 8
    .kernarg_segment_size: 28
    .language:       OpenCL C
    .language_version:
      - 2
      - 0
    .max_flat_workgroup_size: 256
    .name:           _Z6kernelI26subtract_left_partial_tileLj256ELj8ELb1EJPiS1_S1_jEEvDpT3_
    .private_segment_fixed_size: 0
    .sgpr_count:     18
    .sgpr_spill_count: 0
    .symbol:         _Z6kernelI26subtract_left_partial_tileLj256ELj8ELb1EJPiS1_S1_jEEvDpT3_.kd
    .uniform_work_group_size: 1
    .uses_dynamic_stack: false
    .vgpr_count:     27
    .vgpr_spill_count: 0
    .wavefront_size: 64
  - .agpr_count:     0
    .args:
      - .address_space:  global
        .offset:         0
        .size:           8
        .value_kind:     global_buffer
      - .address_space:  global
        .offset:         8
        .size:           8
        .value_kind:     global_buffer
      - .address_space:  global
        .offset:         16
        .size:           8
        .value_kind:     global_buffer
      - .offset:         24
        .size:           4
        .value_kind:     by_value
    .group_segment_fixed_size: 2048
    .kernarg_segment_align: 8
    .kernarg_segment_size: 28
    .language:       OpenCL C
    .language_version:
      - 2
      - 0
    .max_flat_workgroup_size: 256
    .name:           _Z6kernelI26subtract_left_partial_tileLj256ELj16ELb1EJPiS1_S1_jEEvDpT3_
    .private_segment_fixed_size: 0
    .sgpr_count:     18
    .sgpr_spill_count: 0
    .symbol:         _Z6kernelI26subtract_left_partial_tileLj256ELj16ELb1EJPiS1_S1_jEEvDpT3_.kd
    .uniform_work_group_size: 1
    .uses_dynamic_stack: false
    .vgpr_count:     51
    .vgpr_spill_count: 0
    .wavefront_size: 64
  - .agpr_count:     0
    .args:
      - .address_space:  global
        .offset:         0
        .size:           8
        .value_kind:     global_buffer
      - .address_space:  global
        .offset:         8
        .size:           8
        .value_kind:     global_buffer
      - .address_space:  global
        .offset:         16
        .size:           8
        .value_kind:     global_buffer
      - .offset:         24
        .size:           4
        .value_kind:     by_value
    .group_segment_fixed_size: 2048
    .kernarg_segment_align: 8
    .kernarg_segment_size: 28
    .language:       OpenCL C
    .language_version:
      - 2
      - 0
    .max_flat_workgroup_size: 256
    .name:           _Z6kernelI26subtract_left_partial_tileLj256ELj32ELb1EJPiS1_S1_jEEvDpT3_
    .private_segment_fixed_size: 0
    .sgpr_count:     18
    .sgpr_spill_count: 0
    .symbol:         _Z6kernelI26subtract_left_partial_tileLj256ELj32ELb1EJPiS1_S1_jEEvDpT3_.kd
    .uniform_work_group_size: 1
    .uses_dynamic_stack: false
    .vgpr_count:     71
    .vgpr_spill_count: 0
    .wavefront_size: 64
  - .agpr_count:     0
    .args:
      - .address_space:  global
        .offset:         0
        .size:           8
        .value_kind:     global_buffer
      - .address_space:  global
        .offset:         8
        .size:           8
        .value_kind:     global_buffer
      - .address_space:  global
        .offset:         16
        .size:           8
        .value_kind:     global_buffer
      - .offset:         24
        .size:           4
        .value_kind:     by_value
    .group_segment_fixed_size: 2048
    .kernarg_segment_align: 8
    .kernarg_segment_size: 28
    .language:       OpenCL C
    .language_version:
      - 2
      - 0
    .max_flat_workgroup_size: 256
    .name:           _Z6kernelI26subtract_left_partial_tileLj256ELj1ELb1EJPfPiS1_jEEvDpT3_
    .private_segment_fixed_size: 0
    .sgpr_count:     20
    .sgpr_spill_count: 0
    .symbol:         _Z6kernelI26subtract_left_partial_tileLj256ELj1ELb1EJPfPiS1_jEEvDpT3_.kd
    .uniform_work_group_size: 1
    .uses_dynamic_stack: false
    .vgpr_count:     5
    .vgpr_spill_count: 0
    .wavefront_size: 64
  - .agpr_count:     0
    .args:
      - .address_space:  global
        .offset:         0
        .size:           8
        .value_kind:     global_buffer
      - .address_space:  global
        .offset:         8
        .size:           8
        .value_kind:     global_buffer
      - .address_space:  global
        .offset:         16
        .size:           8
        .value_kind:     global_buffer
      - .offset:         24
        .size:           4
        .value_kind:     by_value
    .group_segment_fixed_size: 2048
    .kernarg_segment_align: 8
    .kernarg_segment_size: 28
    .language:       OpenCL C
    .language_version:
      - 2
      - 0
    .max_flat_workgroup_size: 256
    .name:           _Z6kernelI26subtract_left_partial_tileLj256ELj3ELb1EJPfPiS1_jEEvDpT3_
    .private_segment_fixed_size: 0
    .sgpr_count:     20
    .sgpr_spill_count: 0
    .symbol:         _Z6kernelI26subtract_left_partial_tileLj256ELj3ELb1EJPfPiS1_jEEvDpT3_.kd
    .uniform_work_group_size: 1
    .uses_dynamic_stack: false
    .vgpr_count:     13
    .vgpr_spill_count: 0
    .wavefront_size: 64
  - .agpr_count:     0
    .args:
      - .address_space:  global
        .offset:         0
        .size:           8
        .value_kind:     global_buffer
      - .address_space:  global
        .offset:         8
        .size:           8
        .value_kind:     global_buffer
      - .address_space:  global
        .offset:         16
        .size:           8
        .value_kind:     global_buffer
      - .offset:         24
        .size:           4
        .value_kind:     by_value
    .group_segment_fixed_size: 2048
    .kernarg_segment_align: 8
    .kernarg_segment_size: 28
    .language:       OpenCL C
    .language_version:
      - 2
      - 0
    .max_flat_workgroup_size: 256
    .name:           _Z6kernelI26subtract_left_partial_tileLj256ELj4ELb1EJPfPiS1_jEEvDpT3_
    .private_segment_fixed_size: 0
    .sgpr_count:     20
    .sgpr_spill_count: 0
    .symbol:         _Z6kernelI26subtract_left_partial_tileLj256ELj4ELb1EJPfPiS1_jEEvDpT3_.kd
    .uniform_work_group_size: 1
    .uses_dynamic_stack: false
    .vgpr_count:     14
    .vgpr_spill_count: 0
    .wavefront_size: 64
  - .agpr_count:     0
    .args:
      - .address_space:  global
        .offset:         0
        .size:           8
        .value_kind:     global_buffer
      - .address_space:  global
        .offset:         8
        .size:           8
        .value_kind:     global_buffer
      - .address_space:  global
        .offset:         16
        .size:           8
        .value_kind:     global_buffer
      - .offset:         24
        .size:           4
        .value_kind:     by_value
    .group_segment_fixed_size: 2048
    .kernarg_segment_align: 8
    .kernarg_segment_size: 28
    .language:       OpenCL C
    .language_version:
      - 2
      - 0
    .max_flat_workgroup_size: 256
    .name:           _Z6kernelI26subtract_left_partial_tileLj256ELj8ELb1EJPfPiS1_jEEvDpT3_
    .private_segment_fixed_size: 0
    .sgpr_count:     18
    .sgpr_spill_count: 0
    .symbol:         _Z6kernelI26subtract_left_partial_tileLj256ELj8ELb1EJPfPiS1_jEEvDpT3_.kd
    .uniform_work_group_size: 1
    .uses_dynamic_stack: false
    .vgpr_count:     30
    .vgpr_spill_count: 0
    .wavefront_size: 64
  - .agpr_count:     0
    .args:
      - .address_space:  global
        .offset:         0
        .size:           8
        .value_kind:     global_buffer
      - .address_space:  global
        .offset:         8
        .size:           8
        .value_kind:     global_buffer
      - .address_space:  global
        .offset:         16
        .size:           8
        .value_kind:     global_buffer
      - .offset:         24
        .size:           4
        .value_kind:     by_value
    .group_segment_fixed_size: 2048
    .kernarg_segment_align: 8
    .kernarg_segment_size: 28
    .language:       OpenCL C
    .language_version:
      - 2
      - 0
    .max_flat_workgroup_size: 256
    .name:           _Z6kernelI26subtract_left_partial_tileLj256ELj16ELb1EJPfPiS1_jEEvDpT3_
    .private_segment_fixed_size: 0
    .sgpr_count:     18
    .sgpr_spill_count: 0
    .symbol:         _Z6kernelI26subtract_left_partial_tileLj256ELj16ELb1EJPfPiS1_jEEvDpT3_.kd
    .uniform_work_group_size: 1
    .uses_dynamic_stack: false
    .vgpr_count:     50
    .vgpr_spill_count: 0
    .wavefront_size: 64
  - .agpr_count:     0
    .args:
      - .address_space:  global
        .offset:         0
        .size:           8
        .value_kind:     global_buffer
      - .address_space:  global
        .offset:         8
        .size:           8
        .value_kind:     global_buffer
      - .address_space:  global
        .offset:         16
        .size:           8
        .value_kind:     global_buffer
      - .offset:         24
        .size:           4
        .value_kind:     by_value
    .group_segment_fixed_size: 2048
    .kernarg_segment_align: 8
    .kernarg_segment_size: 28
    .language:       OpenCL C
    .language_version:
      - 2
      - 0
    .max_flat_workgroup_size: 256
    .name:           _Z6kernelI26subtract_left_partial_tileLj256ELj32ELb1EJPfPiS1_jEEvDpT3_
    .private_segment_fixed_size: 0
    .sgpr_count:     18
    .sgpr_spill_count: 0
    .symbol:         _Z6kernelI26subtract_left_partial_tileLj256ELj32ELb1EJPfPiS1_jEEvDpT3_.kd
    .uniform_work_group_size: 1
    .uses_dynamic_stack: false
    .vgpr_count:     98
    .vgpr_spill_count: 0
    .wavefront_size: 64
  - .agpr_count:     0
    .args:
      - .address_space:  global
        .offset:         0
        .size:           8
        .value_kind:     global_buffer
      - .address_space:  global
        .offset:         8
        .size:           8
        .value_kind:     global_buffer
      - .address_space:  global
        .offset:         16
        .size:           8
        .value_kind:     global_buffer
      - .offset:         24
        .size:           4
        .value_kind:     by_value
    .group_segment_fixed_size: 512
    .kernarg_segment_align: 8
    .kernarg_segment_size: 28
    .language:       OpenCL C
    .language_version:
      - 2
      - 0
    .max_flat_workgroup_size: 256
    .name:           _Z6kernelI26subtract_left_partial_tileLj256ELj1ELb1EJPaPiS1_jEEvDpT3_
    .private_segment_fixed_size: 0
    .sgpr_count:     20
    .sgpr_spill_count: 0
    .symbol:         _Z6kernelI26subtract_left_partial_tileLj256ELj1ELb1EJPaPiS1_jEEvDpT3_.kd
    .uniform_work_group_size: 1
    .uses_dynamic_stack: false
    .vgpr_count:     4
    .vgpr_spill_count: 0
    .wavefront_size: 64
  - .agpr_count:     0
    .args:
      - .address_space:  global
        .offset:         0
        .size:           8
        .value_kind:     global_buffer
      - .address_space:  global
        .offset:         8
        .size:           8
        .value_kind:     global_buffer
      - .address_space:  global
        .offset:         16
        .size:           8
        .value_kind:     global_buffer
      - .offset:         24
        .size:           4
        .value_kind:     by_value
    .group_segment_fixed_size: 512
    .kernarg_segment_align: 8
    .kernarg_segment_size: 28
    .language:       OpenCL C
    .language_version:
      - 2
      - 0
    .max_flat_workgroup_size: 256
    .name:           _Z6kernelI26subtract_left_partial_tileLj256ELj3ELb1EJPaPiS1_jEEvDpT3_
    .private_segment_fixed_size: 0
    .sgpr_count:     15
    .sgpr_spill_count: 0
    .symbol:         _Z6kernelI26subtract_left_partial_tileLj256ELj3ELb1EJPaPiS1_jEEvDpT3_.kd
    .uniform_work_group_size: 1
    .uses_dynamic_stack: false
    .vgpr_count:     12
    .vgpr_spill_count: 0
    .wavefront_size: 64
  - .agpr_count:     0
    .args:
      - .address_space:  global
        .offset:         0
        .size:           8
        .value_kind:     global_buffer
      - .address_space:  global
        .offset:         8
        .size:           8
        .value_kind:     global_buffer
      - .address_space:  global
        .offset:         16
        .size:           8
        .value_kind:     global_buffer
      - .offset:         24
        .size:           4
        .value_kind:     by_value
    .group_segment_fixed_size: 512
    .kernarg_segment_align: 8
    .kernarg_segment_size: 28
    .language:       OpenCL C
    .language_version:
      - 2
      - 0
    .max_flat_workgroup_size: 256
    .name:           _Z6kernelI26subtract_left_partial_tileLj256ELj4ELb1EJPaPiS1_jEEvDpT3_
    .private_segment_fixed_size: 0
    .sgpr_count:     15
    .sgpr_spill_count: 0
    .symbol:         _Z6kernelI26subtract_left_partial_tileLj256ELj4ELb1EJPaPiS1_jEEvDpT3_.kd
    .uniform_work_group_size: 1
    .uses_dynamic_stack: false
    .vgpr_count:     14
    .vgpr_spill_count: 0
    .wavefront_size: 64
  - .agpr_count:     0
    .args:
      - .address_space:  global
        .offset:         0
        .size:           8
        .value_kind:     global_buffer
      - .address_space:  global
        .offset:         8
        .size:           8
        .value_kind:     global_buffer
      - .address_space:  global
        .offset:         16
        .size:           8
        .value_kind:     global_buffer
      - .offset:         24
        .size:           4
        .value_kind:     by_value
    .group_segment_fixed_size: 512
    .kernarg_segment_align: 8
    .kernarg_segment_size: 28
    .language:       OpenCL C
    .language_version:
      - 2
      - 0
    .max_flat_workgroup_size: 256
    .name:           _Z6kernelI26subtract_left_partial_tileLj256ELj8ELb1EJPaPiS1_jEEvDpT3_
    .private_segment_fixed_size: 0
    .sgpr_count:     18
    .sgpr_spill_count: 0
    .symbol:         _Z6kernelI26subtract_left_partial_tileLj256ELj8ELb1EJPaPiS1_jEEvDpT3_.kd
    .uniform_work_group_size: 1
    .uses_dynamic_stack: false
    .vgpr_count:     32
    .vgpr_spill_count: 0
    .wavefront_size: 64
  - .agpr_count:     0
    .args:
      - .address_space:  global
        .offset:         0
        .size:           8
        .value_kind:     global_buffer
      - .address_space:  global
        .offset:         8
        .size:           8
        .value_kind:     global_buffer
      - .address_space:  global
        .offset:         16
        .size:           8
        .value_kind:     global_buffer
      - .offset:         24
        .size:           4
        .value_kind:     by_value
    .group_segment_fixed_size: 512
    .kernarg_segment_align: 8
    .kernarg_segment_size: 28
    .language:       OpenCL C
    .language_version:
      - 2
      - 0
    .max_flat_workgroup_size: 256
    .name:           _Z6kernelI26subtract_left_partial_tileLj256ELj16ELb1EJPaPiS1_jEEvDpT3_
    .private_segment_fixed_size: 0
    .sgpr_count:     16
    .sgpr_spill_count: 0
    .symbol:         _Z6kernelI26subtract_left_partial_tileLj256ELj16ELb1EJPaPiS1_jEEvDpT3_.kd
    .uniform_work_group_size: 1
    .uses_dynamic_stack: false
    .vgpr_count:     52
    .vgpr_spill_count: 0
    .wavefront_size: 64
  - .agpr_count:     0
    .args:
      - .address_space:  global
        .offset:         0
        .size:           8
        .value_kind:     global_buffer
      - .address_space:  global
        .offset:         8
        .size:           8
        .value_kind:     global_buffer
      - .address_space:  global
        .offset:         16
        .size:           8
        .value_kind:     global_buffer
      - .offset:         24
        .size:           4
        .value_kind:     by_value
    .group_segment_fixed_size: 512
    .kernarg_segment_align: 8
    .kernarg_segment_size: 28
    .language:       OpenCL C
    .language_version:
      - 2
      - 0
    .max_flat_workgroup_size: 256
    .name:           _Z6kernelI26subtract_left_partial_tileLj256ELj32ELb1EJPaPiS1_jEEvDpT3_
    .private_segment_fixed_size: 0
    .sgpr_count:     15
    .sgpr_spill_count: 0
    .symbol:         _Z6kernelI26subtract_left_partial_tileLj256ELj32ELb1EJPaPiS1_jEEvDpT3_.kd
    .uniform_work_group_size: 1
    .uses_dynamic_stack: false
    .vgpr_count:     70
    .vgpr_spill_count: 0
    .wavefront_size: 64
  - .agpr_count:     0
    .args:
      - .address_space:  global
        .offset:         0
        .size:           8
        .value_kind:     global_buffer
      - .address_space:  global
        .offset:         8
        .size:           8
        .value_kind:     global_buffer
      - .address_space:  global
        .offset:         16
        .size:           8
        .value_kind:     global_buffer
      - .offset:         24
        .size:           4
        .value_kind:     by_value
    .group_segment_fixed_size: 4096
    .kernarg_segment_align: 8
    .kernarg_segment_size: 28
    .language:       OpenCL C
    .language_version:
      - 2
      - 0
    .max_flat_workgroup_size: 256
    .name:           _Z6kernelI26subtract_left_partial_tileLj256ELj1ELb1EJPxPiS1_jEEvDpT3_
    .private_segment_fixed_size: 0
    .sgpr_count:     20
    .sgpr_spill_count: 0
    .symbol:         _Z6kernelI26subtract_left_partial_tileLj256ELj1ELb1EJPxPiS1_jEEvDpT3_.kd
    .uniform_work_group_size: 1
    .uses_dynamic_stack: false
    .vgpr_count:     7
    .vgpr_spill_count: 0
    .wavefront_size: 64
  - .agpr_count:     0
    .args:
      - .address_space:  global
        .offset:         0
        .size:           8
        .value_kind:     global_buffer
      - .address_space:  global
        .offset:         8
        .size:           8
        .value_kind:     global_buffer
      - .address_space:  global
        .offset:         16
        .size:           8
        .value_kind:     global_buffer
      - .offset:         24
        .size:           4
        .value_kind:     by_value
    .group_segment_fixed_size: 4096
    .kernarg_segment_align: 8
    .kernarg_segment_size: 28
    .language:       OpenCL C
    .language_version:
      - 2
      - 0
    .max_flat_workgroup_size: 256
    .name:           _Z6kernelI26subtract_left_partial_tileLj256ELj3ELb1EJPxPiS1_jEEvDpT3_
    .private_segment_fixed_size: 0
    .sgpr_count:     18
    .sgpr_spill_count: 0
    .symbol:         _Z6kernelI26subtract_left_partial_tileLj256ELj3ELb1EJPxPiS1_jEEvDpT3_.kd
    .uniform_work_group_size: 1
    .uses_dynamic_stack: false
    .vgpr_count:     18
    .vgpr_spill_count: 0
    .wavefront_size: 64
  - .agpr_count:     0
    .args:
      - .address_space:  global
        .offset:         0
        .size:           8
        .value_kind:     global_buffer
      - .address_space:  global
        .offset:         8
        .size:           8
        .value_kind:     global_buffer
      - .address_space:  global
        .offset:         16
        .size:           8
        .value_kind:     global_buffer
      - .offset:         24
        .size:           4
        .value_kind:     by_value
    .group_segment_fixed_size: 4096
    .kernarg_segment_align: 8
    .kernarg_segment_size: 28
    .language:       OpenCL C
    .language_version:
      - 2
      - 0
    .max_flat_workgroup_size: 256
    .name:           _Z6kernelI26subtract_left_partial_tileLj256ELj4ELb1EJPxPiS1_jEEvDpT3_
    .private_segment_fixed_size: 0
    .sgpr_count:     18
    .sgpr_spill_count: 0
    .symbol:         _Z6kernelI26subtract_left_partial_tileLj256ELj4ELb1EJPxPiS1_jEEvDpT3_.kd
    .uniform_work_group_size: 1
    .uses_dynamic_stack: false
    .vgpr_count:     23
    .vgpr_spill_count: 0
    .wavefront_size: 64
  - .agpr_count:     0
    .args:
      - .address_space:  global
        .offset:         0
        .size:           8
        .value_kind:     global_buffer
      - .address_space:  global
        .offset:         8
        .size:           8
        .value_kind:     global_buffer
      - .address_space:  global
        .offset:         16
        .size:           8
        .value_kind:     global_buffer
      - .offset:         24
        .size:           4
        .value_kind:     by_value
    .group_segment_fixed_size: 4096
    .kernarg_segment_align: 8
    .kernarg_segment_size: 28
    .language:       OpenCL C
    .language_version:
      - 2
      - 0
    .max_flat_workgroup_size: 256
    .name:           _Z6kernelI26subtract_left_partial_tileLj256ELj8ELb1EJPxPiS1_jEEvDpT3_
    .private_segment_fixed_size: 0
    .sgpr_count:     18
    .sgpr_spill_count: 0
    .symbol:         _Z6kernelI26subtract_left_partial_tileLj256ELj8ELb1EJPxPiS1_jEEvDpT3_.kd
    .uniform_work_group_size: 1
    .uses_dynamic_stack: false
    .vgpr_count:     42
    .vgpr_spill_count: 0
    .wavefront_size: 64
  - .agpr_count:     0
    .args:
      - .address_space:  global
        .offset:         0
        .size:           8
        .value_kind:     global_buffer
      - .address_space:  global
        .offset:         8
        .size:           8
        .value_kind:     global_buffer
      - .address_space:  global
        .offset:         16
        .size:           8
        .value_kind:     global_buffer
      - .offset:         24
        .size:           4
        .value_kind:     by_value
    .group_segment_fixed_size: 4096
    .kernarg_segment_align: 8
    .kernarg_segment_size: 28
    .language:       OpenCL C
    .language_version:
      - 2
      - 0
    .max_flat_workgroup_size: 256
    .name:           _Z6kernelI26subtract_left_partial_tileLj256ELj16ELb1EJPxPiS1_jEEvDpT3_
    .private_segment_fixed_size: 0
    .sgpr_count:     18
    .sgpr_spill_count: 0
    .symbol:         _Z6kernelI26subtract_left_partial_tileLj256ELj16ELb1EJPxPiS1_jEEvDpT3_.kd
    .uniform_work_group_size: 1
    .uses_dynamic_stack: false
    .vgpr_count:     63
    .vgpr_spill_count: 0
    .wavefront_size: 64
  - .agpr_count:     0
    .args:
      - .address_space:  global
        .offset:         0
        .size:           8
        .value_kind:     global_buffer
      - .address_space:  global
        .offset:         8
        .size:           8
        .value_kind:     global_buffer
      - .address_space:  global
        .offset:         16
        .size:           8
        .value_kind:     global_buffer
      - .offset:         24
        .size:           4
        .value_kind:     by_value
    .group_segment_fixed_size: 4096
    .kernarg_segment_align: 8
    .kernarg_segment_size: 28
    .language:       OpenCL C
    .language_version:
      - 2
      - 0
    .max_flat_workgroup_size: 256
    .name:           _Z6kernelI26subtract_left_partial_tileLj256ELj32ELb1EJPxPiS1_jEEvDpT3_
    .private_segment_fixed_size: 0
    .sgpr_count:     18
    .sgpr_spill_count: 0
    .symbol:         _Z6kernelI26subtract_left_partial_tileLj256ELj32ELb1EJPxPiS1_jEEvDpT3_.kd
    .uniform_work_group_size: 1
    .uses_dynamic_stack: false
    .vgpr_count:     127
    .vgpr_spill_count: 0
    .wavefront_size: 64
  - .agpr_count:     0
    .args:
      - .address_space:  global
        .offset:         0
        .size:           8
        .value_kind:     global_buffer
      - .address_space:  global
        .offset:         8
        .size:           8
        .value_kind:     global_buffer
      - .address_space:  global
        .offset:         16
        .size:           8
        .value_kind:     global_buffer
      - .offset:         24
        .size:           4
        .value_kind:     by_value
    .group_segment_fixed_size: 4096
    .kernarg_segment_align: 8
    .kernarg_segment_size: 28
    .language:       OpenCL C
    .language_version:
      - 2
      - 0
    .max_flat_workgroup_size: 256
    .name:           _Z6kernelI26subtract_left_partial_tileLj256ELj1ELb1EJPdPiS1_jEEvDpT3_
    .private_segment_fixed_size: 0
    .sgpr_count:     20
    .sgpr_spill_count: 0
    .symbol:         _Z6kernelI26subtract_left_partial_tileLj256ELj1ELb1EJPdPiS1_jEEvDpT3_.kd
    .uniform_work_group_size: 1
    .uses_dynamic_stack: false
    .vgpr_count:     7
    .vgpr_spill_count: 0
    .wavefront_size: 64
  - .agpr_count:     0
    .args:
      - .address_space:  global
        .offset:         0
        .size:           8
        .value_kind:     global_buffer
      - .address_space:  global
        .offset:         8
        .size:           8
        .value_kind:     global_buffer
      - .address_space:  global
        .offset:         16
        .size:           8
        .value_kind:     global_buffer
      - .offset:         24
        .size:           4
        .value_kind:     by_value
    .group_segment_fixed_size: 4096
    .kernarg_segment_align: 8
    .kernarg_segment_size: 28
    .language:       OpenCL C
    .language_version:
      - 2
      - 0
    .max_flat_workgroup_size: 256
    .name:           _Z6kernelI26subtract_left_partial_tileLj256ELj3ELb1EJPdPiS1_jEEvDpT3_
    .private_segment_fixed_size: 0
    .sgpr_count:     18
    .sgpr_spill_count: 0
    .symbol:         _Z6kernelI26subtract_left_partial_tileLj256ELj3ELb1EJPdPiS1_jEEvDpT3_.kd
    .uniform_work_group_size: 1
    .uses_dynamic_stack: false
    .vgpr_count:     18
    .vgpr_spill_count: 0
    .wavefront_size: 64
  - .agpr_count:     0
    .args:
      - .address_space:  global
        .offset:         0
        .size:           8
        .value_kind:     global_buffer
      - .address_space:  global
        .offset:         8
        .size:           8
        .value_kind:     global_buffer
      - .address_space:  global
        .offset:         16
        .size:           8
        .value_kind:     global_buffer
      - .offset:         24
        .size:           4
        .value_kind:     by_value
    .group_segment_fixed_size: 4096
    .kernarg_segment_align: 8
    .kernarg_segment_size: 28
    .language:       OpenCL C
    .language_version:
      - 2
      - 0
    .max_flat_workgroup_size: 256
    .name:           _Z6kernelI26subtract_left_partial_tileLj256ELj4ELb1EJPdPiS1_jEEvDpT3_
    .private_segment_fixed_size: 0
    .sgpr_count:     18
    .sgpr_spill_count: 0
    .symbol:         _Z6kernelI26subtract_left_partial_tileLj256ELj4ELb1EJPdPiS1_jEEvDpT3_.kd
    .uniform_work_group_size: 1
    .uses_dynamic_stack: false
    .vgpr_count:     24
    .vgpr_spill_count: 0
    .wavefront_size: 64
  - .agpr_count:     0
    .args:
      - .address_space:  global
        .offset:         0
        .size:           8
        .value_kind:     global_buffer
      - .address_space:  global
        .offset:         8
        .size:           8
        .value_kind:     global_buffer
      - .address_space:  global
        .offset:         16
        .size:           8
        .value_kind:     global_buffer
      - .offset:         24
        .size:           4
        .value_kind:     by_value
    .group_segment_fixed_size: 4096
    .kernarg_segment_align: 8
    .kernarg_segment_size: 28
    .language:       OpenCL C
    .language_version:
      - 2
      - 0
    .max_flat_workgroup_size: 256
    .name:           _Z6kernelI26subtract_left_partial_tileLj256ELj8ELb1EJPdPiS1_jEEvDpT3_
    .private_segment_fixed_size: 0
    .sgpr_count:     18
    .sgpr_spill_count: 0
    .symbol:         _Z6kernelI26subtract_left_partial_tileLj256ELj8ELb1EJPdPiS1_jEEvDpT3_.kd
    .uniform_work_group_size: 1
    .uses_dynamic_stack: false
    .vgpr_count:     42
    .vgpr_spill_count: 0
    .wavefront_size: 64
  - .agpr_count:     0
    .args:
      - .address_space:  global
        .offset:         0
        .size:           8
        .value_kind:     global_buffer
      - .address_space:  global
        .offset:         8
        .size:           8
        .value_kind:     global_buffer
      - .address_space:  global
        .offset:         16
        .size:           8
        .value_kind:     global_buffer
      - .offset:         24
        .size:           4
        .value_kind:     by_value
    .group_segment_fixed_size: 4096
    .kernarg_segment_align: 8
    .kernarg_segment_size: 28
    .language:       OpenCL C
    .language_version:
      - 2
      - 0
    .max_flat_workgroup_size: 256
    .name:           _Z6kernelI26subtract_left_partial_tileLj256ELj16ELb1EJPdPiS1_jEEvDpT3_
    .private_segment_fixed_size: 0
    .sgpr_count:     18
    .sgpr_spill_count: 0
    .symbol:         _Z6kernelI26subtract_left_partial_tileLj256ELj16ELb1EJPdPiS1_jEEvDpT3_.kd
    .uniform_work_group_size: 1
    .uses_dynamic_stack: false
    .vgpr_count:     84
    .vgpr_spill_count: 0
    .wavefront_size: 64
  - .agpr_count:     0
    .args:
      - .address_space:  global
        .offset:         0
        .size:           8
        .value_kind:     global_buffer
      - .address_space:  global
        .offset:         8
        .size:           8
        .value_kind:     global_buffer
      - .address_space:  global
        .offset:         16
        .size:           8
        .value_kind:     global_buffer
      - .offset:         24
        .size:           4
        .value_kind:     by_value
    .group_segment_fixed_size: 4096
    .kernarg_segment_align: 8
    .kernarg_segment_size: 28
    .language:       OpenCL C
    .language_version:
      - 2
      - 0
    .max_flat_workgroup_size: 256
    .name:           _Z6kernelI26subtract_left_partial_tileLj256ELj32ELb1EJPdPiS1_jEEvDpT3_
    .private_segment_fixed_size: 0
    .sgpr_count:     18
    .sgpr_spill_count: 0
    .symbol:         _Z6kernelI26subtract_left_partial_tileLj256ELj32ELb1EJPdPiS1_jEEvDpT3_.kd
    .uniform_work_group_size: 1
    .uses_dynamic_stack: false
    .vgpr_count:     164
    .vgpr_spill_count: 0
    .wavefront_size: 64
  - .agpr_count:     0
    .args:
      - .address_space:  global
        .offset:         0
        .size:           8
        .value_kind:     global_buffer
      - .address_space:  global
        .offset:         8
        .size:           8
        .value_kind:     global_buffer
      - .address_space:  global
        .offset:         16
        .size:           8
        .value_kind:     global_buffer
      - .offset:         24
        .size:           4
        .value_kind:     by_value
    .group_segment_fixed_size: 2048
    .kernarg_segment_align: 8
    .kernarg_segment_size: 28
    .language:       OpenCL C
    .language_version:
      - 2
      - 0
    .max_flat_workgroup_size: 256
    .name:           _Z6kernelI27subtract_right_partial_tileLj256ELj1ELb0EJPiS1_S1_jEEvDpT3_
    .private_segment_fixed_size: 0
    .sgpr_count:     18
    .sgpr_spill_count: 0
    .symbol:         _Z6kernelI27subtract_right_partial_tileLj256ELj1ELb0EJPiS1_S1_jEEvDpT3_.kd
    .uniform_work_group_size: 1
    .uses_dynamic_stack: false
    .vgpr_count:     6
    .vgpr_spill_count: 0
    .wavefront_size: 64
  - .agpr_count:     0
    .args:
      - .address_space:  global
        .offset:         0
        .size:           8
        .value_kind:     global_buffer
      - .address_space:  global
        .offset:         8
        .size:           8
        .value_kind:     global_buffer
      - .address_space:  global
        .offset:         16
        .size:           8
        .value_kind:     global_buffer
      - .offset:         24
        .size:           4
        .value_kind:     by_value
    .group_segment_fixed_size: 2048
    .kernarg_segment_align: 8
    .kernarg_segment_size: 28
    .language:       OpenCL C
    .language_version:
      - 2
      - 0
    .max_flat_workgroup_size: 256
    .name:           _Z6kernelI27subtract_right_partial_tileLj256ELj3ELb0EJPiS1_S1_jEEvDpT3_
    .private_segment_fixed_size: 0
    .sgpr_count:     18
    .sgpr_spill_count: 0
    .symbol:         _Z6kernelI27subtract_right_partial_tileLj256ELj3ELb0EJPiS1_S1_jEEvDpT3_.kd
    .uniform_work_group_size: 1
    .uses_dynamic_stack: false
    .vgpr_count:     12
    .vgpr_spill_count: 0
    .wavefront_size: 64
  - .agpr_count:     0
    .args:
      - .address_space:  global
        .offset:         0
        .size:           8
        .value_kind:     global_buffer
      - .address_space:  global
        .offset:         8
        .size:           8
        .value_kind:     global_buffer
      - .address_space:  global
        .offset:         16
        .size:           8
        .value_kind:     global_buffer
      - .offset:         24
        .size:           4
        .value_kind:     by_value
    .group_segment_fixed_size: 2048
    .kernarg_segment_align: 8
    .kernarg_segment_size: 28
    .language:       OpenCL C
    .language_version:
      - 2
      - 0
    .max_flat_workgroup_size: 256
    .name:           _Z6kernelI27subtract_right_partial_tileLj256ELj4ELb0EJPiS1_S1_jEEvDpT3_
    .private_segment_fixed_size: 0
    .sgpr_count:     18
    .sgpr_spill_count: 0
    .symbol:         _Z6kernelI27subtract_right_partial_tileLj256ELj4ELb0EJPiS1_S1_jEEvDpT3_.kd
    .uniform_work_group_size: 1
    .uses_dynamic_stack: false
    .vgpr_count:     15
    .vgpr_spill_count: 0
    .wavefront_size: 64
  - .agpr_count:     0
    .args:
      - .address_space:  global
        .offset:         0
        .size:           8
        .value_kind:     global_buffer
      - .address_space:  global
        .offset:         8
        .size:           8
        .value_kind:     global_buffer
      - .address_space:  global
        .offset:         16
        .size:           8
        .value_kind:     global_buffer
      - .offset:         24
        .size:           4
        .value_kind:     by_value
    .group_segment_fixed_size: 2048
    .kernarg_segment_align: 8
    .kernarg_segment_size: 28
    .language:       OpenCL C
    .language_version:
      - 2
      - 0
    .max_flat_workgroup_size: 256
    .name:           _Z6kernelI27subtract_right_partial_tileLj256ELj8ELb0EJPiS1_S1_jEEvDpT3_
    .private_segment_fixed_size: 0
    .sgpr_count:     18
    .sgpr_spill_count: 0
    .symbol:         _Z6kernelI27subtract_right_partial_tileLj256ELj8ELb0EJPiS1_S1_jEEvDpT3_.kd
    .uniform_work_group_size: 1
    .uses_dynamic_stack: false
    .vgpr_count:     27
    .vgpr_spill_count: 0
    .wavefront_size: 64
  - .agpr_count:     0
    .args:
      - .address_space:  global
        .offset:         0
        .size:           8
        .value_kind:     global_buffer
      - .address_space:  global
        .offset:         8
        .size:           8
        .value_kind:     global_buffer
      - .address_space:  global
        .offset:         16
        .size:           8
        .value_kind:     global_buffer
      - .offset:         24
        .size:           4
        .value_kind:     by_value
    .group_segment_fixed_size: 2048
    .kernarg_segment_align: 8
    .kernarg_segment_size: 28
    .language:       OpenCL C
    .language_version:
      - 2
      - 0
    .max_flat_workgroup_size: 256
    .name:           _Z6kernelI27subtract_right_partial_tileLj256ELj16ELb0EJPiS1_S1_jEEvDpT3_
    .private_segment_fixed_size: 0
    .sgpr_count:     18
    .sgpr_spill_count: 0
    .symbol:         _Z6kernelI27subtract_right_partial_tileLj256ELj16ELb0EJPiS1_S1_jEEvDpT3_.kd
    .uniform_work_group_size: 1
    .uses_dynamic_stack: false
    .vgpr_count:     51
    .vgpr_spill_count: 0
    .wavefront_size: 64
  - .agpr_count:     0
    .args:
      - .address_space:  global
        .offset:         0
        .size:           8
        .value_kind:     global_buffer
      - .address_space:  global
        .offset:         8
        .size:           8
        .value_kind:     global_buffer
      - .address_space:  global
        .offset:         16
        .size:           8
        .value_kind:     global_buffer
      - .offset:         24
        .size:           4
        .value_kind:     by_value
    .group_segment_fixed_size: 2048
    .kernarg_segment_align: 8
    .kernarg_segment_size: 28
    .language:       OpenCL C
    .language_version:
      - 2
      - 0
    .max_flat_workgroup_size: 256
    .name:           _Z6kernelI27subtract_right_partial_tileLj256ELj32ELb0EJPiS1_S1_jEEvDpT3_
    .private_segment_fixed_size: 0
    .sgpr_count:     18
    .sgpr_spill_count: 0
    .symbol:         _Z6kernelI27subtract_right_partial_tileLj256ELj32ELb0EJPiS1_S1_jEEvDpT3_.kd
    .uniform_work_group_size: 1
    .uses_dynamic_stack: false
    .vgpr_count:     69
    .vgpr_spill_count: 0
    .wavefront_size: 64
  - .agpr_count:     0
    .args:
      - .address_space:  global
        .offset:         0
        .size:           8
        .value_kind:     global_buffer
      - .address_space:  global
        .offset:         8
        .size:           8
        .value_kind:     global_buffer
      - .address_space:  global
        .offset:         16
        .size:           8
        .value_kind:     global_buffer
      - .offset:         24
        .size:           4
        .value_kind:     by_value
    .group_segment_fixed_size: 2048
    .kernarg_segment_align: 8
    .kernarg_segment_size: 28
    .language:       OpenCL C
    .language_version:
      - 2
      - 0
    .max_flat_workgroup_size: 256
    .name:           _Z6kernelI27subtract_right_partial_tileLj256ELj1ELb0EJPfPiS1_jEEvDpT3_
    .private_segment_fixed_size: 0
    .sgpr_count:     18
    .sgpr_spill_count: 0
    .symbol:         _Z6kernelI27subtract_right_partial_tileLj256ELj1ELb0EJPfPiS1_jEEvDpT3_.kd
    .uniform_work_group_size: 1
    .uses_dynamic_stack: false
    .vgpr_count:     6
    .vgpr_spill_count: 0
    .wavefront_size: 64
  - .agpr_count:     0
    .args:
      - .address_space:  global
        .offset:         0
        .size:           8
        .value_kind:     global_buffer
      - .address_space:  global
        .offset:         8
        .size:           8
        .value_kind:     global_buffer
      - .address_space:  global
        .offset:         16
        .size:           8
        .value_kind:     global_buffer
      - .offset:         24
        .size:           4
        .value_kind:     by_value
    .group_segment_fixed_size: 2048
    .kernarg_segment_align: 8
    .kernarg_segment_size: 28
    .language:       OpenCL C
    .language_version:
      - 2
      - 0
    .max_flat_workgroup_size: 256
    .name:           _Z6kernelI27subtract_right_partial_tileLj256ELj3ELb0EJPfPiS1_jEEvDpT3_
    .private_segment_fixed_size: 0
    .sgpr_count:     18
    .sgpr_spill_count: 0
    .symbol:         _Z6kernelI27subtract_right_partial_tileLj256ELj3ELb0EJPfPiS1_jEEvDpT3_.kd
    .uniform_work_group_size: 1
    .uses_dynamic_stack: false
    .vgpr_count:     12
    .vgpr_spill_count: 0
    .wavefront_size: 64
  - .agpr_count:     0
    .args:
      - .address_space:  global
        .offset:         0
        .size:           8
        .value_kind:     global_buffer
      - .address_space:  global
        .offset:         8
        .size:           8
        .value_kind:     global_buffer
      - .address_space:  global
        .offset:         16
        .size:           8
        .value_kind:     global_buffer
      - .offset:         24
        .size:           4
        .value_kind:     by_value
    .group_segment_fixed_size: 2048
    .kernarg_segment_align: 8
    .kernarg_segment_size: 28
    .language:       OpenCL C
    .language_version:
      - 2
      - 0
    .max_flat_workgroup_size: 256
    .name:           _Z6kernelI27subtract_right_partial_tileLj256ELj4ELb0EJPfPiS1_jEEvDpT3_
    .private_segment_fixed_size: 0
    .sgpr_count:     18
    .sgpr_spill_count: 0
    .symbol:         _Z6kernelI27subtract_right_partial_tileLj256ELj4ELb0EJPfPiS1_jEEvDpT3_.kd
    .uniform_work_group_size: 1
    .uses_dynamic_stack: false
    .vgpr_count:     15
    .vgpr_spill_count: 0
    .wavefront_size: 64
  - .agpr_count:     0
    .args:
      - .address_space:  global
        .offset:         0
        .size:           8
        .value_kind:     global_buffer
      - .address_space:  global
        .offset:         8
        .size:           8
        .value_kind:     global_buffer
      - .address_space:  global
        .offset:         16
        .size:           8
        .value_kind:     global_buffer
      - .offset:         24
        .size:           4
        .value_kind:     by_value
    .group_segment_fixed_size: 2048
    .kernarg_segment_align: 8
    .kernarg_segment_size: 28
    .language:       OpenCL C
    .language_version:
      - 2
      - 0
    .max_flat_workgroup_size: 256
    .name:           _Z6kernelI27subtract_right_partial_tileLj256ELj8ELb0EJPfPiS1_jEEvDpT3_
    .private_segment_fixed_size: 0
    .sgpr_count:     18
    .sgpr_spill_count: 0
    .symbol:         _Z6kernelI27subtract_right_partial_tileLj256ELj8ELb0EJPfPiS1_jEEvDpT3_.kd
    .uniform_work_group_size: 1
    .uses_dynamic_stack: false
    .vgpr_count:     32
    .vgpr_spill_count: 0
    .wavefront_size: 64
  - .agpr_count:     0
    .args:
      - .address_space:  global
        .offset:         0
        .size:           8
        .value_kind:     global_buffer
      - .address_space:  global
        .offset:         8
        .size:           8
        .value_kind:     global_buffer
      - .address_space:  global
        .offset:         16
        .size:           8
        .value_kind:     global_buffer
      - .offset:         24
        .size:           4
        .value_kind:     by_value
    .group_segment_fixed_size: 2048
    .kernarg_segment_align: 8
    .kernarg_segment_size: 28
    .language:       OpenCL C
    .language_version:
      - 2
      - 0
    .max_flat_workgroup_size: 256
    .name:           _Z6kernelI27subtract_right_partial_tileLj256ELj16ELb0EJPfPiS1_jEEvDpT3_
    .private_segment_fixed_size: 0
    .sgpr_count:     18
    .sgpr_spill_count: 0
    .symbol:         _Z6kernelI27subtract_right_partial_tileLj256ELj16ELb0EJPfPiS1_jEEvDpT3_.kd
    .uniform_work_group_size: 1
    .uses_dynamic_stack: false
    .vgpr_count:     52
    .vgpr_spill_count: 0
    .wavefront_size: 64
  - .agpr_count:     0
    .args:
      - .address_space:  global
        .offset:         0
        .size:           8
        .value_kind:     global_buffer
      - .address_space:  global
        .offset:         8
        .size:           8
        .value_kind:     global_buffer
      - .address_space:  global
        .offset:         16
        .size:           8
        .value_kind:     global_buffer
      - .offset:         24
        .size:           4
        .value_kind:     by_value
    .group_segment_fixed_size: 2048
    .kernarg_segment_align: 8
    .kernarg_segment_size: 28
    .language:       OpenCL C
    .language_version:
      - 2
      - 0
    .max_flat_workgroup_size: 256
    .name:           _Z6kernelI27subtract_right_partial_tileLj256ELj32ELb0EJPfPiS1_jEEvDpT3_
    .private_segment_fixed_size: 0
    .sgpr_count:     18
    .sgpr_spill_count: 0
    .symbol:         _Z6kernelI27subtract_right_partial_tileLj256ELj32ELb0EJPfPiS1_jEEvDpT3_.kd
    .uniform_work_group_size: 1
    .uses_dynamic_stack: false
    .vgpr_count:     100
    .vgpr_spill_count: 0
    .wavefront_size: 64
  - .agpr_count:     0
    .args:
      - .address_space:  global
        .offset:         0
        .size:           8
        .value_kind:     global_buffer
      - .address_space:  global
        .offset:         8
        .size:           8
        .value_kind:     global_buffer
      - .address_space:  global
        .offset:         16
        .size:           8
        .value_kind:     global_buffer
      - .offset:         24
        .size:           4
        .value_kind:     by_value
    .group_segment_fixed_size: 512
    .kernarg_segment_align: 8
    .kernarg_segment_size: 28
    .language:       OpenCL C
    .language_version:
      - 2
      - 0
    .max_flat_workgroup_size: 256
    .name:           _Z6kernelI27subtract_right_partial_tileLj256ELj1ELb0EJPaPiS1_jEEvDpT3_
    .private_segment_fixed_size: 0
    .sgpr_count:     20
    .sgpr_spill_count: 0
    .symbol:         _Z6kernelI27subtract_right_partial_tileLj256ELj1ELb0EJPaPiS1_jEEvDpT3_.kd
    .uniform_work_group_size: 1
    .uses_dynamic_stack: false
    .vgpr_count:     4
    .vgpr_spill_count: 0
    .wavefront_size: 64
  - .agpr_count:     0
    .args:
      - .address_space:  global
        .offset:         0
        .size:           8
        .value_kind:     global_buffer
      - .address_space:  global
        .offset:         8
        .size:           8
        .value_kind:     global_buffer
      - .address_space:  global
        .offset:         16
        .size:           8
        .value_kind:     global_buffer
      - .offset:         24
        .size:           4
        .value_kind:     by_value
    .group_segment_fixed_size: 512
    .kernarg_segment_align: 8
    .kernarg_segment_size: 28
    .language:       OpenCL C
    .language_version:
      - 2
      - 0
    .max_flat_workgroup_size: 256
    .name:           _Z6kernelI27subtract_right_partial_tileLj256ELj3ELb0EJPaPiS1_jEEvDpT3_
    .private_segment_fixed_size: 0
    .sgpr_count:     15
    .sgpr_spill_count: 0
    .symbol:         _Z6kernelI27subtract_right_partial_tileLj256ELj3ELb0EJPaPiS1_jEEvDpT3_.kd
    .uniform_work_group_size: 1
    .uses_dynamic_stack: false
    .vgpr_count:     11
    .vgpr_spill_count: 0
    .wavefront_size: 64
  - .agpr_count:     0
    .args:
      - .address_space:  global
        .offset:         0
        .size:           8
        .value_kind:     global_buffer
      - .address_space:  global
        .offset:         8
        .size:           8
        .value_kind:     global_buffer
      - .address_space:  global
        .offset:         16
        .size:           8
        .value_kind:     global_buffer
      - .offset:         24
        .size:           4
        .value_kind:     by_value
    .group_segment_fixed_size: 512
    .kernarg_segment_align: 8
    .kernarg_segment_size: 28
    .language:       OpenCL C
    .language_version:
      - 2
      - 0
    .max_flat_workgroup_size: 256
    .name:           _Z6kernelI27subtract_right_partial_tileLj256ELj4ELb0EJPaPiS1_jEEvDpT3_
    .private_segment_fixed_size: 0
    .sgpr_count:     16
    .sgpr_spill_count: 0
    .symbol:         _Z6kernelI27subtract_right_partial_tileLj256ELj4ELb0EJPaPiS1_jEEvDpT3_.kd
    .uniform_work_group_size: 1
    .uses_dynamic_stack: false
    .vgpr_count:     13
    .vgpr_spill_count: 0
    .wavefront_size: 64
  - .agpr_count:     0
    .args:
      - .address_space:  global
        .offset:         0
        .size:           8
        .value_kind:     global_buffer
      - .address_space:  global
        .offset:         8
        .size:           8
        .value_kind:     global_buffer
      - .address_space:  global
        .offset:         16
        .size:           8
        .value_kind:     global_buffer
      - .offset:         24
        .size:           4
        .value_kind:     by_value
    .group_segment_fixed_size: 512
    .kernarg_segment_align: 8
    .kernarg_segment_size: 28
    .language:       OpenCL C
    .language_version:
      - 2
      - 0
    .max_flat_workgroup_size: 256
    .name:           _Z6kernelI27subtract_right_partial_tileLj256ELj8ELb0EJPaPiS1_jEEvDpT3_
    .private_segment_fixed_size: 0
    .sgpr_count:     19
    .sgpr_spill_count: 0
    .symbol:         _Z6kernelI27subtract_right_partial_tileLj256ELj8ELb0EJPaPiS1_jEEvDpT3_.kd
    .uniform_work_group_size: 1
    .uses_dynamic_stack: false
    .vgpr_count:     24
    .vgpr_spill_count: 0
    .wavefront_size: 64
  - .agpr_count:     0
    .args:
      - .address_space:  global
        .offset:         0
        .size:           8
        .value_kind:     global_buffer
      - .address_space:  global
        .offset:         8
        .size:           8
        .value_kind:     global_buffer
      - .address_space:  global
        .offset:         16
        .size:           8
        .value_kind:     global_buffer
      - .offset:         24
        .size:           4
        .value_kind:     by_value
    .group_segment_fixed_size: 512
    .kernarg_segment_align: 8
    .kernarg_segment_size: 28
    .language:       OpenCL C
    .language_version:
      - 2
      - 0
    .max_flat_workgroup_size: 256
    .name:           _Z6kernelI27subtract_right_partial_tileLj256ELj16ELb0EJPaPiS1_jEEvDpT3_
    .private_segment_fixed_size: 0
    .sgpr_count:     17
    .sgpr_spill_count: 0
    .symbol:         _Z6kernelI27subtract_right_partial_tileLj256ELj16ELb0EJPaPiS1_jEEvDpT3_.kd
    .uniform_work_group_size: 1
    .uses_dynamic_stack: false
    .vgpr_count:     45
    .vgpr_spill_count: 0
    .wavefront_size: 64
  - .agpr_count:     0
    .args:
      - .address_space:  global
        .offset:         0
        .size:           8
        .value_kind:     global_buffer
      - .address_space:  global
        .offset:         8
        .size:           8
        .value_kind:     global_buffer
      - .address_space:  global
        .offset:         16
        .size:           8
        .value_kind:     global_buffer
      - .offset:         24
        .size:           4
        .value_kind:     by_value
    .group_segment_fixed_size: 512
    .kernarg_segment_align: 8
    .kernarg_segment_size: 28
    .language:       OpenCL C
    .language_version:
      - 2
      - 0
    .max_flat_workgroup_size: 256
    .name:           _Z6kernelI27subtract_right_partial_tileLj256ELj32ELb0EJPaPiS1_jEEvDpT3_
    .private_segment_fixed_size: 0
    .sgpr_count:     15
    .sgpr_spill_count: 0
    .symbol:         _Z6kernelI27subtract_right_partial_tileLj256ELj32ELb0EJPaPiS1_jEEvDpT3_.kd
    .uniform_work_group_size: 1
    .uses_dynamic_stack: false
    .vgpr_count:     70
    .vgpr_spill_count: 0
    .wavefront_size: 64
  - .agpr_count:     0
    .args:
      - .address_space:  global
        .offset:         0
        .size:           8
        .value_kind:     global_buffer
      - .address_space:  global
        .offset:         8
        .size:           8
        .value_kind:     global_buffer
      - .address_space:  global
        .offset:         16
        .size:           8
        .value_kind:     global_buffer
      - .offset:         24
        .size:           4
        .value_kind:     by_value
    .group_segment_fixed_size: 4096
    .kernarg_segment_align: 8
    .kernarg_segment_size: 28
    .language:       OpenCL C
    .language_version:
      - 2
      - 0
    .max_flat_workgroup_size: 256
    .name:           _Z6kernelI27subtract_right_partial_tileLj256ELj1ELb0EJPxPiS1_jEEvDpT3_
    .private_segment_fixed_size: 0
    .sgpr_count:     18
    .sgpr_spill_count: 0
    .symbol:         _Z6kernelI27subtract_right_partial_tileLj256ELj1ELb0EJPxPiS1_jEEvDpT3_.kd
    .uniform_work_group_size: 1
    .uses_dynamic_stack: false
    .vgpr_count:     8
    .vgpr_spill_count: 0
    .wavefront_size: 64
  - .agpr_count:     0
    .args:
      - .address_space:  global
        .offset:         0
        .size:           8
        .value_kind:     global_buffer
      - .address_space:  global
        .offset:         8
        .size:           8
        .value_kind:     global_buffer
      - .address_space:  global
        .offset:         16
        .size:           8
        .value_kind:     global_buffer
      - .offset:         24
        .size:           4
        .value_kind:     by_value
    .group_segment_fixed_size: 4096
    .kernarg_segment_align: 8
    .kernarg_segment_size: 28
    .language:       OpenCL C
    .language_version:
      - 2
      - 0
    .max_flat_workgroup_size: 256
    .name:           _Z6kernelI27subtract_right_partial_tileLj256ELj3ELb0EJPxPiS1_jEEvDpT3_
    .private_segment_fixed_size: 0
    .sgpr_count:     18
    .sgpr_spill_count: 0
    .symbol:         _Z6kernelI27subtract_right_partial_tileLj256ELj3ELb0EJPxPiS1_jEEvDpT3_.kd
    .uniform_work_group_size: 1
    .uses_dynamic_stack: false
    .vgpr_count:     18
    .vgpr_spill_count: 0
    .wavefront_size: 64
  - .agpr_count:     0
    .args:
      - .address_space:  global
        .offset:         0
        .size:           8
        .value_kind:     global_buffer
      - .address_space:  global
        .offset:         8
        .size:           8
        .value_kind:     global_buffer
      - .address_space:  global
        .offset:         16
        .size:           8
        .value_kind:     global_buffer
      - .offset:         24
        .size:           4
        .value_kind:     by_value
    .group_segment_fixed_size: 4096
    .kernarg_segment_align: 8
    .kernarg_segment_size: 28
    .language:       OpenCL C
    .language_version:
      - 2
      - 0
    .max_flat_workgroup_size: 256
    .name:           _Z6kernelI27subtract_right_partial_tileLj256ELj4ELb0EJPxPiS1_jEEvDpT3_
    .private_segment_fixed_size: 0
    .sgpr_count:     18
    .sgpr_spill_count: 0
    .symbol:         _Z6kernelI27subtract_right_partial_tileLj256ELj4ELb0EJPxPiS1_jEEvDpT3_.kd
    .uniform_work_group_size: 1
    .uses_dynamic_stack: false
    .vgpr_count:     23
    .vgpr_spill_count: 0
    .wavefront_size: 64
  - .agpr_count:     0
    .args:
      - .address_space:  global
        .offset:         0
        .size:           8
        .value_kind:     global_buffer
      - .address_space:  global
        .offset:         8
        .size:           8
        .value_kind:     global_buffer
      - .address_space:  global
        .offset:         16
        .size:           8
        .value_kind:     global_buffer
      - .offset:         24
        .size:           4
        .value_kind:     by_value
    .group_segment_fixed_size: 4096
    .kernarg_segment_align: 8
    .kernarg_segment_size: 28
    .language:       OpenCL C
    .language_version:
      - 2
      - 0
    .max_flat_workgroup_size: 256
    .name:           _Z6kernelI27subtract_right_partial_tileLj256ELj8ELb0EJPxPiS1_jEEvDpT3_
    .private_segment_fixed_size: 0
    .sgpr_count:     18
    .sgpr_spill_count: 0
    .symbol:         _Z6kernelI27subtract_right_partial_tileLj256ELj8ELb0EJPxPiS1_jEEvDpT3_.kd
    .uniform_work_group_size: 1
    .uses_dynamic_stack: false
    .vgpr_count:     43
    .vgpr_spill_count: 0
    .wavefront_size: 64
  - .agpr_count:     0
    .args:
      - .address_space:  global
        .offset:         0
        .size:           8
        .value_kind:     global_buffer
      - .address_space:  global
        .offset:         8
        .size:           8
        .value_kind:     global_buffer
      - .address_space:  global
        .offset:         16
        .size:           8
        .value_kind:     global_buffer
      - .offset:         24
        .size:           4
        .value_kind:     by_value
    .group_segment_fixed_size: 4096
    .kernarg_segment_align: 8
    .kernarg_segment_size: 28
    .language:       OpenCL C
    .language_version:
      - 2
      - 0
    .max_flat_workgroup_size: 256
    .name:           _Z6kernelI27subtract_right_partial_tileLj256ELj16ELb0EJPxPiS1_jEEvDpT3_
    .private_segment_fixed_size: 0
    .sgpr_count:     18
    .sgpr_spill_count: 0
    .symbol:         _Z6kernelI27subtract_right_partial_tileLj256ELj16ELb0EJPxPiS1_jEEvDpT3_.kd
    .uniform_work_group_size: 1
    .uses_dynamic_stack: false
    .vgpr_count:     57
    .vgpr_spill_count: 0
    .wavefront_size: 64
  - .agpr_count:     0
    .args:
      - .address_space:  global
        .offset:         0
        .size:           8
        .value_kind:     global_buffer
      - .address_space:  global
        .offset:         8
        .size:           8
        .value_kind:     global_buffer
      - .address_space:  global
        .offset:         16
        .size:           8
        .value_kind:     global_buffer
      - .offset:         24
        .size:           4
        .value_kind:     by_value
    .group_segment_fixed_size: 4096
    .kernarg_segment_align: 8
    .kernarg_segment_size: 28
    .language:       OpenCL C
    .language_version:
      - 2
      - 0
    .max_flat_workgroup_size: 256
    .name:           _Z6kernelI27subtract_right_partial_tileLj256ELj32ELb0EJPxPiS1_jEEvDpT3_
    .private_segment_fixed_size: 0
    .sgpr_count:     18
    .sgpr_spill_count: 0
    .symbol:         _Z6kernelI27subtract_right_partial_tileLj256ELj32ELb0EJPxPiS1_jEEvDpT3_.kd
    .uniform_work_group_size: 1
    .uses_dynamic_stack: false
    .vgpr_count:     122
    .vgpr_spill_count: 0
    .wavefront_size: 64
  - .agpr_count:     0
    .args:
      - .address_space:  global
        .offset:         0
        .size:           8
        .value_kind:     global_buffer
      - .address_space:  global
        .offset:         8
        .size:           8
        .value_kind:     global_buffer
      - .address_space:  global
        .offset:         16
        .size:           8
        .value_kind:     global_buffer
      - .offset:         24
        .size:           4
        .value_kind:     by_value
    .group_segment_fixed_size: 4096
    .kernarg_segment_align: 8
    .kernarg_segment_size: 28
    .language:       OpenCL C
    .language_version:
      - 2
      - 0
    .max_flat_workgroup_size: 256
    .name:           _Z6kernelI27subtract_right_partial_tileLj256ELj1ELb0EJPdPiS1_jEEvDpT3_
    .private_segment_fixed_size: 0
    .sgpr_count:     18
    .sgpr_spill_count: 0
    .symbol:         _Z6kernelI27subtract_right_partial_tileLj256ELj1ELb0EJPdPiS1_jEEvDpT3_.kd
    .uniform_work_group_size: 1
    .uses_dynamic_stack: false
    .vgpr_count:     8
    .vgpr_spill_count: 0
    .wavefront_size: 64
  - .agpr_count:     0
    .args:
      - .address_space:  global
        .offset:         0
        .size:           8
        .value_kind:     global_buffer
      - .address_space:  global
        .offset:         8
        .size:           8
        .value_kind:     global_buffer
      - .address_space:  global
        .offset:         16
        .size:           8
        .value_kind:     global_buffer
      - .offset:         24
        .size:           4
        .value_kind:     by_value
    .group_segment_fixed_size: 4096
    .kernarg_segment_align: 8
    .kernarg_segment_size: 28
    .language:       OpenCL C
    .language_version:
      - 2
      - 0
    .max_flat_workgroup_size: 256
    .name:           _Z6kernelI27subtract_right_partial_tileLj256ELj3ELb0EJPdPiS1_jEEvDpT3_
    .private_segment_fixed_size: 0
    .sgpr_count:     18
    .sgpr_spill_count: 0
    .symbol:         _Z6kernelI27subtract_right_partial_tileLj256ELj3ELb0EJPdPiS1_jEEvDpT3_.kd
    .uniform_work_group_size: 1
    .uses_dynamic_stack: false
    .vgpr_count:     18
    .vgpr_spill_count: 0
    .wavefront_size: 64
  - .agpr_count:     0
    .args:
      - .address_space:  global
        .offset:         0
        .size:           8
        .value_kind:     global_buffer
      - .address_space:  global
        .offset:         8
        .size:           8
        .value_kind:     global_buffer
      - .address_space:  global
        .offset:         16
        .size:           8
        .value_kind:     global_buffer
      - .offset:         24
        .size:           4
        .value_kind:     by_value
    .group_segment_fixed_size: 4096
    .kernarg_segment_align: 8
    .kernarg_segment_size: 28
    .language:       OpenCL C
    .language_version:
      - 2
      - 0
    .max_flat_workgroup_size: 256
    .name:           _Z6kernelI27subtract_right_partial_tileLj256ELj4ELb0EJPdPiS1_jEEvDpT3_
    .private_segment_fixed_size: 0
    .sgpr_count:     18
    .sgpr_spill_count: 0
    .symbol:         _Z6kernelI27subtract_right_partial_tileLj256ELj4ELb0EJPdPiS1_jEEvDpT3_.kd
    .uniform_work_group_size: 1
    .uses_dynamic_stack: false
    .vgpr_count:     24
    .vgpr_spill_count: 0
    .wavefront_size: 64
  - .agpr_count:     0
    .args:
      - .address_space:  global
        .offset:         0
        .size:           8
        .value_kind:     global_buffer
      - .address_space:  global
        .offset:         8
        .size:           8
        .value_kind:     global_buffer
      - .address_space:  global
        .offset:         16
        .size:           8
        .value_kind:     global_buffer
      - .offset:         24
        .size:           4
        .value_kind:     by_value
    .group_segment_fixed_size: 4096
    .kernarg_segment_align: 8
    .kernarg_segment_size: 28
    .language:       OpenCL C
    .language_version:
      - 2
      - 0
    .max_flat_workgroup_size: 256
    .name:           _Z6kernelI27subtract_right_partial_tileLj256ELj8ELb0EJPdPiS1_jEEvDpT3_
    .private_segment_fixed_size: 0
    .sgpr_count:     18
    .sgpr_spill_count: 0
    .symbol:         _Z6kernelI27subtract_right_partial_tileLj256ELj8ELb0EJPdPiS1_jEEvDpT3_.kd
    .uniform_work_group_size: 1
    .uses_dynamic_stack: false
    .vgpr_count:     44
    .vgpr_spill_count: 0
    .wavefront_size: 64
  - .agpr_count:     0
    .args:
      - .address_space:  global
        .offset:         0
        .size:           8
        .value_kind:     global_buffer
      - .address_space:  global
        .offset:         8
        .size:           8
        .value_kind:     global_buffer
      - .address_space:  global
        .offset:         16
        .size:           8
        .value_kind:     global_buffer
      - .offset:         24
        .size:           4
        .value_kind:     by_value
    .group_segment_fixed_size: 4096
    .kernarg_segment_align: 8
    .kernarg_segment_size: 28
    .language:       OpenCL C
    .language_version:
      - 2
      - 0
    .max_flat_workgroup_size: 256
    .name:           _Z6kernelI27subtract_right_partial_tileLj256ELj16ELb0EJPdPiS1_jEEvDpT3_
    .private_segment_fixed_size: 0
    .sgpr_count:     18
    .sgpr_spill_count: 0
    .symbol:         _Z6kernelI27subtract_right_partial_tileLj256ELj16ELb0EJPdPiS1_jEEvDpT3_.kd
    .uniform_work_group_size: 1
    .uses_dynamic_stack: false
    .vgpr_count:     84
    .vgpr_spill_count: 0
    .wavefront_size: 64
  - .agpr_count:     0
    .args:
      - .address_space:  global
        .offset:         0
        .size:           8
        .value_kind:     global_buffer
      - .address_space:  global
        .offset:         8
        .size:           8
        .value_kind:     global_buffer
      - .address_space:  global
        .offset:         16
        .size:           8
        .value_kind:     global_buffer
      - .offset:         24
        .size:           4
        .value_kind:     by_value
    .group_segment_fixed_size: 4096
    .kernarg_segment_align: 8
    .kernarg_segment_size: 28
    .language:       OpenCL C
    .language_version:
      - 2
      - 0
    .max_flat_workgroup_size: 256
    .name:           _Z6kernelI27subtract_right_partial_tileLj256ELj32ELb0EJPdPiS1_jEEvDpT3_
    .private_segment_fixed_size: 0
    .sgpr_count:     18
    .sgpr_spill_count: 0
    .symbol:         _Z6kernelI27subtract_right_partial_tileLj256ELj32ELb0EJPdPiS1_jEEvDpT3_.kd
    .uniform_work_group_size: 1
    .uses_dynamic_stack: false
    .vgpr_count:     164
    .vgpr_spill_count: 0
    .wavefront_size: 64
  - .agpr_count:     0
    .args:
      - .address_space:  global
        .offset:         0
        .size:           8
        .value_kind:     global_buffer
      - .address_space:  global
        .offset:         8
        .size:           8
        .value_kind:     global_buffer
      - .address_space:  global
        .offset:         16
        .size:           8
        .value_kind:     global_buffer
      - .offset:         24
        .size:           4
        .value_kind:     by_value
    .group_segment_fixed_size: 2048
    .kernarg_segment_align: 8
    .kernarg_segment_size: 28
    .language:       OpenCL C
    .language_version:
      - 2
      - 0
    .max_flat_workgroup_size: 256
    .name:           _Z6kernelI27subtract_right_partial_tileLj256ELj1ELb1EJPiS1_S1_jEEvDpT3_
    .private_segment_fixed_size: 0
    .sgpr_count:     18
    .sgpr_spill_count: 0
    .symbol:         _Z6kernelI27subtract_right_partial_tileLj256ELj1ELb1EJPiS1_S1_jEEvDpT3_.kd
    .uniform_work_group_size: 1
    .uses_dynamic_stack: false
    .vgpr_count:     6
    .vgpr_spill_count: 0
    .wavefront_size: 64
  - .agpr_count:     0
    .args:
      - .address_space:  global
        .offset:         0
        .size:           8
        .value_kind:     global_buffer
      - .address_space:  global
        .offset:         8
        .size:           8
        .value_kind:     global_buffer
      - .address_space:  global
        .offset:         16
        .size:           8
        .value_kind:     global_buffer
      - .offset:         24
        .size:           4
        .value_kind:     by_value
    .group_segment_fixed_size: 2048
    .kernarg_segment_align: 8
    .kernarg_segment_size: 28
    .language:       OpenCL C
    .language_version:
      - 2
      - 0
    .max_flat_workgroup_size: 256
    .name:           _Z6kernelI27subtract_right_partial_tileLj256ELj3ELb1EJPiS1_S1_jEEvDpT3_
    .private_segment_fixed_size: 0
    .sgpr_count:     18
    .sgpr_spill_count: 0
    .symbol:         _Z6kernelI27subtract_right_partial_tileLj256ELj3ELb1EJPiS1_S1_jEEvDpT3_.kd
    .uniform_work_group_size: 1
    .uses_dynamic_stack: false
    .vgpr_count:     12
    .vgpr_spill_count: 0
    .wavefront_size: 64
  - .agpr_count:     0
    .args:
      - .address_space:  global
        .offset:         0
        .size:           8
        .value_kind:     global_buffer
      - .address_space:  global
        .offset:         8
        .size:           8
        .value_kind:     global_buffer
      - .address_space:  global
        .offset:         16
        .size:           8
        .value_kind:     global_buffer
      - .offset:         24
        .size:           4
        .value_kind:     by_value
    .group_segment_fixed_size: 2048
    .kernarg_segment_align: 8
    .kernarg_segment_size: 28
    .language:       OpenCL C
    .language_version:
      - 2
      - 0
    .max_flat_workgroup_size: 256
    .name:           _Z6kernelI27subtract_right_partial_tileLj256ELj4ELb1EJPiS1_S1_jEEvDpT3_
    .private_segment_fixed_size: 0
    .sgpr_count:     18
    .sgpr_spill_count: 0
    .symbol:         _Z6kernelI27subtract_right_partial_tileLj256ELj4ELb1EJPiS1_S1_jEEvDpT3_.kd
    .uniform_work_group_size: 1
    .uses_dynamic_stack: false
    .vgpr_count:     15
    .vgpr_spill_count: 0
    .wavefront_size: 64
  - .agpr_count:     0
    .args:
      - .address_space:  global
        .offset:         0
        .size:           8
        .value_kind:     global_buffer
      - .address_space:  global
        .offset:         8
        .size:           8
        .value_kind:     global_buffer
      - .address_space:  global
        .offset:         16
        .size:           8
        .value_kind:     global_buffer
      - .offset:         24
        .size:           4
        .value_kind:     by_value
    .group_segment_fixed_size: 2048
    .kernarg_segment_align: 8
    .kernarg_segment_size: 28
    .language:       OpenCL C
    .language_version:
      - 2
      - 0
    .max_flat_workgroup_size: 256
    .name:           _Z6kernelI27subtract_right_partial_tileLj256ELj8ELb1EJPiS1_S1_jEEvDpT3_
    .private_segment_fixed_size: 0
    .sgpr_count:     18
    .sgpr_spill_count: 0
    .symbol:         _Z6kernelI27subtract_right_partial_tileLj256ELj8ELb1EJPiS1_S1_jEEvDpT3_.kd
    .uniform_work_group_size: 1
    .uses_dynamic_stack: false
    .vgpr_count:     27
    .vgpr_spill_count: 0
    .wavefront_size: 64
  - .agpr_count:     0
    .args:
      - .address_space:  global
        .offset:         0
        .size:           8
        .value_kind:     global_buffer
      - .address_space:  global
        .offset:         8
        .size:           8
        .value_kind:     global_buffer
      - .address_space:  global
        .offset:         16
        .size:           8
        .value_kind:     global_buffer
      - .offset:         24
        .size:           4
        .value_kind:     by_value
    .group_segment_fixed_size: 2048
    .kernarg_segment_align: 8
    .kernarg_segment_size: 28
    .language:       OpenCL C
    .language_version:
      - 2
      - 0
    .max_flat_workgroup_size: 256
    .name:           _Z6kernelI27subtract_right_partial_tileLj256ELj16ELb1EJPiS1_S1_jEEvDpT3_
    .private_segment_fixed_size: 0
    .sgpr_count:     18
    .sgpr_spill_count: 0
    .symbol:         _Z6kernelI27subtract_right_partial_tileLj256ELj16ELb1EJPiS1_S1_jEEvDpT3_.kd
    .uniform_work_group_size: 1
    .uses_dynamic_stack: false
    .vgpr_count:     51
    .vgpr_spill_count: 0
    .wavefront_size: 64
  - .agpr_count:     0
    .args:
      - .address_space:  global
        .offset:         0
        .size:           8
        .value_kind:     global_buffer
      - .address_space:  global
        .offset:         8
        .size:           8
        .value_kind:     global_buffer
      - .address_space:  global
        .offset:         16
        .size:           8
        .value_kind:     global_buffer
      - .offset:         24
        .size:           4
        .value_kind:     by_value
    .group_segment_fixed_size: 2048
    .kernarg_segment_align: 8
    .kernarg_segment_size: 28
    .language:       OpenCL C
    .language_version:
      - 2
      - 0
    .max_flat_workgroup_size: 256
    .name:           _Z6kernelI27subtract_right_partial_tileLj256ELj32ELb1EJPiS1_S1_jEEvDpT3_
    .private_segment_fixed_size: 0
    .sgpr_count:     18
    .sgpr_spill_count: 0
    .symbol:         _Z6kernelI27subtract_right_partial_tileLj256ELj32ELb1EJPiS1_S1_jEEvDpT3_.kd
    .uniform_work_group_size: 1
    .uses_dynamic_stack: false
    .vgpr_count:     69
    .vgpr_spill_count: 0
    .wavefront_size: 64
  - .agpr_count:     0
    .args:
      - .address_space:  global
        .offset:         0
        .size:           8
        .value_kind:     global_buffer
      - .address_space:  global
        .offset:         8
        .size:           8
        .value_kind:     global_buffer
      - .address_space:  global
        .offset:         16
        .size:           8
        .value_kind:     global_buffer
      - .offset:         24
        .size:           4
        .value_kind:     by_value
    .group_segment_fixed_size: 2048
    .kernarg_segment_align: 8
    .kernarg_segment_size: 28
    .language:       OpenCL C
    .language_version:
      - 2
      - 0
    .max_flat_workgroup_size: 256
    .name:           _Z6kernelI27subtract_right_partial_tileLj256ELj1ELb1EJPfPiS1_jEEvDpT3_
    .private_segment_fixed_size: 0
    .sgpr_count:     18
    .sgpr_spill_count: 0
    .symbol:         _Z6kernelI27subtract_right_partial_tileLj256ELj1ELb1EJPfPiS1_jEEvDpT3_.kd
    .uniform_work_group_size: 1
    .uses_dynamic_stack: false
    .vgpr_count:     6
    .vgpr_spill_count: 0
    .wavefront_size: 64
  - .agpr_count:     0
    .args:
      - .address_space:  global
        .offset:         0
        .size:           8
        .value_kind:     global_buffer
      - .address_space:  global
        .offset:         8
        .size:           8
        .value_kind:     global_buffer
      - .address_space:  global
        .offset:         16
        .size:           8
        .value_kind:     global_buffer
      - .offset:         24
        .size:           4
        .value_kind:     by_value
    .group_segment_fixed_size: 2048
    .kernarg_segment_align: 8
    .kernarg_segment_size: 28
    .language:       OpenCL C
    .language_version:
      - 2
      - 0
    .max_flat_workgroup_size: 256
    .name:           _Z6kernelI27subtract_right_partial_tileLj256ELj3ELb1EJPfPiS1_jEEvDpT3_
    .private_segment_fixed_size: 0
    .sgpr_count:     18
    .sgpr_spill_count: 0
    .symbol:         _Z6kernelI27subtract_right_partial_tileLj256ELj3ELb1EJPfPiS1_jEEvDpT3_.kd
    .uniform_work_group_size: 1
    .uses_dynamic_stack: false
    .vgpr_count:     12
    .vgpr_spill_count: 0
    .wavefront_size: 64
  - .agpr_count:     0
    .args:
      - .address_space:  global
        .offset:         0
        .size:           8
        .value_kind:     global_buffer
      - .address_space:  global
        .offset:         8
        .size:           8
        .value_kind:     global_buffer
      - .address_space:  global
        .offset:         16
        .size:           8
        .value_kind:     global_buffer
      - .offset:         24
        .size:           4
        .value_kind:     by_value
    .group_segment_fixed_size: 2048
    .kernarg_segment_align: 8
    .kernarg_segment_size: 28
    .language:       OpenCL C
    .language_version:
      - 2
      - 0
    .max_flat_workgroup_size: 256
    .name:           _Z6kernelI27subtract_right_partial_tileLj256ELj4ELb1EJPfPiS1_jEEvDpT3_
    .private_segment_fixed_size: 0
    .sgpr_count:     18
    .sgpr_spill_count: 0
    .symbol:         _Z6kernelI27subtract_right_partial_tileLj256ELj4ELb1EJPfPiS1_jEEvDpT3_.kd
    .uniform_work_group_size: 1
    .uses_dynamic_stack: false
    .vgpr_count:     15
    .vgpr_spill_count: 0
    .wavefront_size: 64
  - .agpr_count:     0
    .args:
      - .address_space:  global
        .offset:         0
        .size:           8
        .value_kind:     global_buffer
      - .address_space:  global
        .offset:         8
        .size:           8
        .value_kind:     global_buffer
      - .address_space:  global
        .offset:         16
        .size:           8
        .value_kind:     global_buffer
      - .offset:         24
        .size:           4
        .value_kind:     by_value
    .group_segment_fixed_size: 2048
    .kernarg_segment_align: 8
    .kernarg_segment_size: 28
    .language:       OpenCL C
    .language_version:
      - 2
      - 0
    .max_flat_workgroup_size: 256
    .name:           _Z6kernelI27subtract_right_partial_tileLj256ELj8ELb1EJPfPiS1_jEEvDpT3_
    .private_segment_fixed_size: 0
    .sgpr_count:     18
    .sgpr_spill_count: 0
    .symbol:         _Z6kernelI27subtract_right_partial_tileLj256ELj8ELb1EJPfPiS1_jEEvDpT3_.kd
    .uniform_work_group_size: 1
    .uses_dynamic_stack: false
    .vgpr_count:     32
    .vgpr_spill_count: 0
    .wavefront_size: 64
  - .agpr_count:     0
    .args:
      - .address_space:  global
        .offset:         0
        .size:           8
        .value_kind:     global_buffer
      - .address_space:  global
        .offset:         8
        .size:           8
        .value_kind:     global_buffer
      - .address_space:  global
        .offset:         16
        .size:           8
        .value_kind:     global_buffer
      - .offset:         24
        .size:           4
        .value_kind:     by_value
    .group_segment_fixed_size: 2048
    .kernarg_segment_align: 8
    .kernarg_segment_size: 28
    .language:       OpenCL C
    .language_version:
      - 2
      - 0
    .max_flat_workgroup_size: 256
    .name:           _Z6kernelI27subtract_right_partial_tileLj256ELj16ELb1EJPfPiS1_jEEvDpT3_
    .private_segment_fixed_size: 0
    .sgpr_count:     18
    .sgpr_spill_count: 0
    .symbol:         _Z6kernelI27subtract_right_partial_tileLj256ELj16ELb1EJPfPiS1_jEEvDpT3_.kd
    .uniform_work_group_size: 1
    .uses_dynamic_stack: false
    .vgpr_count:     52
    .vgpr_spill_count: 0
    .wavefront_size: 64
  - .agpr_count:     0
    .args:
      - .address_space:  global
        .offset:         0
        .size:           8
        .value_kind:     global_buffer
      - .address_space:  global
        .offset:         8
        .size:           8
        .value_kind:     global_buffer
      - .address_space:  global
        .offset:         16
        .size:           8
        .value_kind:     global_buffer
      - .offset:         24
        .size:           4
        .value_kind:     by_value
    .group_segment_fixed_size: 2048
    .kernarg_segment_align: 8
    .kernarg_segment_size: 28
    .language:       OpenCL C
    .language_version:
      - 2
      - 0
    .max_flat_workgroup_size: 256
    .name:           _Z6kernelI27subtract_right_partial_tileLj256ELj32ELb1EJPfPiS1_jEEvDpT3_
    .private_segment_fixed_size: 0
    .sgpr_count:     18
    .sgpr_spill_count: 0
    .symbol:         _Z6kernelI27subtract_right_partial_tileLj256ELj32ELb1EJPfPiS1_jEEvDpT3_.kd
    .uniform_work_group_size: 1
    .uses_dynamic_stack: false
    .vgpr_count:     100
    .vgpr_spill_count: 0
    .wavefront_size: 64
  - .agpr_count:     0
    .args:
      - .address_space:  global
        .offset:         0
        .size:           8
        .value_kind:     global_buffer
      - .address_space:  global
        .offset:         8
        .size:           8
        .value_kind:     global_buffer
      - .address_space:  global
        .offset:         16
        .size:           8
        .value_kind:     global_buffer
      - .offset:         24
        .size:           4
        .value_kind:     by_value
    .group_segment_fixed_size: 512
    .kernarg_segment_align: 8
    .kernarg_segment_size: 28
    .language:       OpenCL C
    .language_version:
      - 2
      - 0
    .max_flat_workgroup_size: 256
    .name:           _Z6kernelI27subtract_right_partial_tileLj256ELj1ELb1EJPaPiS1_jEEvDpT3_
    .private_segment_fixed_size: 0
    .sgpr_count:     20
    .sgpr_spill_count: 0
    .symbol:         _Z6kernelI27subtract_right_partial_tileLj256ELj1ELb1EJPaPiS1_jEEvDpT3_.kd
    .uniform_work_group_size: 1
    .uses_dynamic_stack: false
    .vgpr_count:     4
    .vgpr_spill_count: 0
    .wavefront_size: 64
  - .agpr_count:     0
    .args:
      - .address_space:  global
        .offset:         0
        .size:           8
        .value_kind:     global_buffer
      - .address_space:  global
        .offset:         8
        .size:           8
        .value_kind:     global_buffer
      - .address_space:  global
        .offset:         16
        .size:           8
        .value_kind:     global_buffer
      - .offset:         24
        .size:           4
        .value_kind:     by_value
    .group_segment_fixed_size: 512
    .kernarg_segment_align: 8
    .kernarg_segment_size: 28
    .language:       OpenCL C
    .language_version:
      - 2
      - 0
    .max_flat_workgroup_size: 256
    .name:           _Z6kernelI27subtract_right_partial_tileLj256ELj3ELb1EJPaPiS1_jEEvDpT3_
    .private_segment_fixed_size: 0
    .sgpr_count:     15
    .sgpr_spill_count: 0
    .symbol:         _Z6kernelI27subtract_right_partial_tileLj256ELj3ELb1EJPaPiS1_jEEvDpT3_.kd
    .uniform_work_group_size: 1
    .uses_dynamic_stack: false
    .vgpr_count:     11
    .vgpr_spill_count: 0
    .wavefront_size: 64
  - .agpr_count:     0
    .args:
      - .address_space:  global
        .offset:         0
        .size:           8
        .value_kind:     global_buffer
      - .address_space:  global
        .offset:         8
        .size:           8
        .value_kind:     global_buffer
      - .address_space:  global
        .offset:         16
        .size:           8
        .value_kind:     global_buffer
      - .offset:         24
        .size:           4
        .value_kind:     by_value
    .group_segment_fixed_size: 512
    .kernarg_segment_align: 8
    .kernarg_segment_size: 28
    .language:       OpenCL C
    .language_version:
      - 2
      - 0
    .max_flat_workgroup_size: 256
    .name:           _Z6kernelI27subtract_right_partial_tileLj256ELj4ELb1EJPaPiS1_jEEvDpT3_
    .private_segment_fixed_size: 0
    .sgpr_count:     16
    .sgpr_spill_count: 0
    .symbol:         _Z6kernelI27subtract_right_partial_tileLj256ELj4ELb1EJPaPiS1_jEEvDpT3_.kd
    .uniform_work_group_size: 1
    .uses_dynamic_stack: false
    .vgpr_count:     13
    .vgpr_spill_count: 0
    .wavefront_size: 64
  - .agpr_count:     0
    .args:
      - .address_space:  global
        .offset:         0
        .size:           8
        .value_kind:     global_buffer
      - .address_space:  global
        .offset:         8
        .size:           8
        .value_kind:     global_buffer
      - .address_space:  global
        .offset:         16
        .size:           8
        .value_kind:     global_buffer
      - .offset:         24
        .size:           4
        .value_kind:     by_value
    .group_segment_fixed_size: 512
    .kernarg_segment_align: 8
    .kernarg_segment_size: 28
    .language:       OpenCL C
    .language_version:
      - 2
      - 0
    .max_flat_workgroup_size: 256
    .name:           _Z6kernelI27subtract_right_partial_tileLj256ELj8ELb1EJPaPiS1_jEEvDpT3_
    .private_segment_fixed_size: 0
    .sgpr_count:     19
    .sgpr_spill_count: 0
    .symbol:         _Z6kernelI27subtract_right_partial_tileLj256ELj8ELb1EJPaPiS1_jEEvDpT3_.kd
    .uniform_work_group_size: 1
    .uses_dynamic_stack: false
    .vgpr_count:     24
    .vgpr_spill_count: 0
    .wavefront_size: 64
  - .agpr_count:     0
    .args:
      - .address_space:  global
        .offset:         0
        .size:           8
        .value_kind:     global_buffer
      - .address_space:  global
        .offset:         8
        .size:           8
        .value_kind:     global_buffer
      - .address_space:  global
        .offset:         16
        .size:           8
        .value_kind:     global_buffer
      - .offset:         24
        .size:           4
        .value_kind:     by_value
    .group_segment_fixed_size: 512
    .kernarg_segment_align: 8
    .kernarg_segment_size: 28
    .language:       OpenCL C
    .language_version:
      - 2
      - 0
    .max_flat_workgroup_size: 256
    .name:           _Z6kernelI27subtract_right_partial_tileLj256ELj16ELb1EJPaPiS1_jEEvDpT3_
    .private_segment_fixed_size: 0
    .sgpr_count:     17
    .sgpr_spill_count: 0
    .symbol:         _Z6kernelI27subtract_right_partial_tileLj256ELj16ELb1EJPaPiS1_jEEvDpT3_.kd
    .uniform_work_group_size: 1
    .uses_dynamic_stack: false
    .vgpr_count:     45
    .vgpr_spill_count: 0
    .wavefront_size: 64
  - .agpr_count:     0
    .args:
      - .address_space:  global
        .offset:         0
        .size:           8
        .value_kind:     global_buffer
      - .address_space:  global
        .offset:         8
        .size:           8
        .value_kind:     global_buffer
      - .address_space:  global
        .offset:         16
        .size:           8
        .value_kind:     global_buffer
      - .offset:         24
        .size:           4
        .value_kind:     by_value
    .group_segment_fixed_size: 512
    .kernarg_segment_align: 8
    .kernarg_segment_size: 28
    .language:       OpenCL C
    .language_version:
      - 2
      - 0
    .max_flat_workgroup_size: 256
    .name:           _Z6kernelI27subtract_right_partial_tileLj256ELj32ELb1EJPaPiS1_jEEvDpT3_
    .private_segment_fixed_size: 0
    .sgpr_count:     15
    .sgpr_spill_count: 0
    .symbol:         _Z6kernelI27subtract_right_partial_tileLj256ELj32ELb1EJPaPiS1_jEEvDpT3_.kd
    .uniform_work_group_size: 1
    .uses_dynamic_stack: false
    .vgpr_count:     70
    .vgpr_spill_count: 0
    .wavefront_size: 64
  - .agpr_count:     0
    .args:
      - .address_space:  global
        .offset:         0
        .size:           8
        .value_kind:     global_buffer
      - .address_space:  global
        .offset:         8
        .size:           8
        .value_kind:     global_buffer
      - .address_space:  global
        .offset:         16
        .size:           8
        .value_kind:     global_buffer
      - .offset:         24
        .size:           4
        .value_kind:     by_value
    .group_segment_fixed_size: 4096
    .kernarg_segment_align: 8
    .kernarg_segment_size: 28
    .language:       OpenCL C
    .language_version:
      - 2
      - 0
    .max_flat_workgroup_size: 256
    .name:           _Z6kernelI27subtract_right_partial_tileLj256ELj1ELb1EJPxPiS1_jEEvDpT3_
    .private_segment_fixed_size: 0
    .sgpr_count:     18
    .sgpr_spill_count: 0
    .symbol:         _Z6kernelI27subtract_right_partial_tileLj256ELj1ELb1EJPxPiS1_jEEvDpT3_.kd
    .uniform_work_group_size: 1
    .uses_dynamic_stack: false
    .vgpr_count:     8
    .vgpr_spill_count: 0
    .wavefront_size: 64
  - .agpr_count:     0
    .args:
      - .address_space:  global
        .offset:         0
        .size:           8
        .value_kind:     global_buffer
      - .address_space:  global
        .offset:         8
        .size:           8
        .value_kind:     global_buffer
      - .address_space:  global
        .offset:         16
        .size:           8
        .value_kind:     global_buffer
      - .offset:         24
        .size:           4
        .value_kind:     by_value
    .group_segment_fixed_size: 4096
    .kernarg_segment_align: 8
    .kernarg_segment_size: 28
    .language:       OpenCL C
    .language_version:
      - 2
      - 0
    .max_flat_workgroup_size: 256
    .name:           _Z6kernelI27subtract_right_partial_tileLj256ELj3ELb1EJPxPiS1_jEEvDpT3_
    .private_segment_fixed_size: 0
    .sgpr_count:     18
    .sgpr_spill_count: 0
    .symbol:         _Z6kernelI27subtract_right_partial_tileLj256ELj3ELb1EJPxPiS1_jEEvDpT3_.kd
    .uniform_work_group_size: 1
    .uses_dynamic_stack: false
    .vgpr_count:     18
    .vgpr_spill_count: 0
    .wavefront_size: 64
  - .agpr_count:     0
    .args:
      - .address_space:  global
        .offset:         0
        .size:           8
        .value_kind:     global_buffer
      - .address_space:  global
        .offset:         8
        .size:           8
        .value_kind:     global_buffer
      - .address_space:  global
        .offset:         16
        .size:           8
        .value_kind:     global_buffer
      - .offset:         24
        .size:           4
        .value_kind:     by_value
    .group_segment_fixed_size: 4096
    .kernarg_segment_align: 8
    .kernarg_segment_size: 28
    .language:       OpenCL C
    .language_version:
      - 2
      - 0
    .max_flat_workgroup_size: 256
    .name:           _Z6kernelI27subtract_right_partial_tileLj256ELj4ELb1EJPxPiS1_jEEvDpT3_
    .private_segment_fixed_size: 0
    .sgpr_count:     18
    .sgpr_spill_count: 0
    .symbol:         _Z6kernelI27subtract_right_partial_tileLj256ELj4ELb1EJPxPiS1_jEEvDpT3_.kd
    .uniform_work_group_size: 1
    .uses_dynamic_stack: false
    .vgpr_count:     23
    .vgpr_spill_count: 0
    .wavefront_size: 64
  - .agpr_count:     0
    .args:
      - .address_space:  global
        .offset:         0
        .size:           8
        .value_kind:     global_buffer
      - .address_space:  global
        .offset:         8
        .size:           8
        .value_kind:     global_buffer
      - .address_space:  global
        .offset:         16
        .size:           8
        .value_kind:     global_buffer
      - .offset:         24
        .size:           4
        .value_kind:     by_value
    .group_segment_fixed_size: 4096
    .kernarg_segment_align: 8
    .kernarg_segment_size: 28
    .language:       OpenCL C
    .language_version:
      - 2
      - 0
    .max_flat_workgroup_size: 256
    .name:           _Z6kernelI27subtract_right_partial_tileLj256ELj8ELb1EJPxPiS1_jEEvDpT3_
    .private_segment_fixed_size: 0
    .sgpr_count:     18
    .sgpr_spill_count: 0
    .symbol:         _Z6kernelI27subtract_right_partial_tileLj256ELj8ELb1EJPxPiS1_jEEvDpT3_.kd
    .uniform_work_group_size: 1
    .uses_dynamic_stack: false
    .vgpr_count:     43
    .vgpr_spill_count: 0
    .wavefront_size: 64
  - .agpr_count:     0
    .args:
      - .address_space:  global
        .offset:         0
        .size:           8
        .value_kind:     global_buffer
      - .address_space:  global
        .offset:         8
        .size:           8
        .value_kind:     global_buffer
      - .address_space:  global
        .offset:         16
        .size:           8
        .value_kind:     global_buffer
      - .offset:         24
        .size:           4
        .value_kind:     by_value
    .group_segment_fixed_size: 4096
    .kernarg_segment_align: 8
    .kernarg_segment_size: 28
    .language:       OpenCL C
    .language_version:
      - 2
      - 0
    .max_flat_workgroup_size: 256
    .name:           _Z6kernelI27subtract_right_partial_tileLj256ELj16ELb1EJPxPiS1_jEEvDpT3_
    .private_segment_fixed_size: 0
    .sgpr_count:     18
    .sgpr_spill_count: 0
    .symbol:         _Z6kernelI27subtract_right_partial_tileLj256ELj16ELb1EJPxPiS1_jEEvDpT3_.kd
    .uniform_work_group_size: 1
    .uses_dynamic_stack: false
    .vgpr_count:     57
    .vgpr_spill_count: 0
    .wavefront_size: 64
  - .agpr_count:     0
    .args:
      - .address_space:  global
        .offset:         0
        .size:           8
        .value_kind:     global_buffer
      - .address_space:  global
        .offset:         8
        .size:           8
        .value_kind:     global_buffer
      - .address_space:  global
        .offset:         16
        .size:           8
        .value_kind:     global_buffer
      - .offset:         24
        .size:           4
        .value_kind:     by_value
    .group_segment_fixed_size: 4096
    .kernarg_segment_align: 8
    .kernarg_segment_size: 28
    .language:       OpenCL C
    .language_version:
      - 2
      - 0
    .max_flat_workgroup_size: 256
    .name:           _Z6kernelI27subtract_right_partial_tileLj256ELj32ELb1EJPxPiS1_jEEvDpT3_
    .private_segment_fixed_size: 0
    .sgpr_count:     18
    .sgpr_spill_count: 0
    .symbol:         _Z6kernelI27subtract_right_partial_tileLj256ELj32ELb1EJPxPiS1_jEEvDpT3_.kd
    .uniform_work_group_size: 1
    .uses_dynamic_stack: false
    .vgpr_count:     122
    .vgpr_spill_count: 0
    .wavefront_size: 64
  - .agpr_count:     0
    .args:
      - .address_space:  global
        .offset:         0
        .size:           8
        .value_kind:     global_buffer
      - .address_space:  global
        .offset:         8
        .size:           8
        .value_kind:     global_buffer
      - .address_space:  global
        .offset:         16
        .size:           8
        .value_kind:     global_buffer
      - .offset:         24
        .size:           4
        .value_kind:     by_value
    .group_segment_fixed_size: 4096
    .kernarg_segment_align: 8
    .kernarg_segment_size: 28
    .language:       OpenCL C
    .language_version:
      - 2
      - 0
    .max_flat_workgroup_size: 256
    .name:           _Z6kernelI27subtract_right_partial_tileLj256ELj1ELb1EJPdPiS1_jEEvDpT3_
    .private_segment_fixed_size: 0
    .sgpr_count:     18
    .sgpr_spill_count: 0
    .symbol:         _Z6kernelI27subtract_right_partial_tileLj256ELj1ELb1EJPdPiS1_jEEvDpT3_.kd
    .uniform_work_group_size: 1
    .uses_dynamic_stack: false
    .vgpr_count:     8
    .vgpr_spill_count: 0
    .wavefront_size: 64
  - .agpr_count:     0
    .args:
      - .address_space:  global
        .offset:         0
        .size:           8
        .value_kind:     global_buffer
      - .address_space:  global
        .offset:         8
        .size:           8
        .value_kind:     global_buffer
      - .address_space:  global
        .offset:         16
        .size:           8
        .value_kind:     global_buffer
      - .offset:         24
        .size:           4
        .value_kind:     by_value
    .group_segment_fixed_size: 4096
    .kernarg_segment_align: 8
    .kernarg_segment_size: 28
    .language:       OpenCL C
    .language_version:
      - 2
      - 0
    .max_flat_workgroup_size: 256
    .name:           _Z6kernelI27subtract_right_partial_tileLj256ELj3ELb1EJPdPiS1_jEEvDpT3_
    .private_segment_fixed_size: 0
    .sgpr_count:     18
    .sgpr_spill_count: 0
    .symbol:         _Z6kernelI27subtract_right_partial_tileLj256ELj3ELb1EJPdPiS1_jEEvDpT3_.kd
    .uniform_work_group_size: 1
    .uses_dynamic_stack: false
    .vgpr_count:     18
    .vgpr_spill_count: 0
    .wavefront_size: 64
  - .agpr_count:     0
    .args:
      - .address_space:  global
        .offset:         0
        .size:           8
        .value_kind:     global_buffer
      - .address_space:  global
        .offset:         8
        .size:           8
        .value_kind:     global_buffer
      - .address_space:  global
        .offset:         16
        .size:           8
        .value_kind:     global_buffer
      - .offset:         24
        .size:           4
        .value_kind:     by_value
    .group_segment_fixed_size: 4096
    .kernarg_segment_align: 8
    .kernarg_segment_size: 28
    .language:       OpenCL C
    .language_version:
      - 2
      - 0
    .max_flat_workgroup_size: 256
    .name:           _Z6kernelI27subtract_right_partial_tileLj256ELj4ELb1EJPdPiS1_jEEvDpT3_
    .private_segment_fixed_size: 0
    .sgpr_count:     18
    .sgpr_spill_count: 0
    .symbol:         _Z6kernelI27subtract_right_partial_tileLj256ELj4ELb1EJPdPiS1_jEEvDpT3_.kd
    .uniform_work_group_size: 1
    .uses_dynamic_stack: false
    .vgpr_count:     24
    .vgpr_spill_count: 0
    .wavefront_size: 64
  - .agpr_count:     0
    .args:
      - .address_space:  global
        .offset:         0
        .size:           8
        .value_kind:     global_buffer
      - .address_space:  global
        .offset:         8
        .size:           8
        .value_kind:     global_buffer
      - .address_space:  global
        .offset:         16
        .size:           8
        .value_kind:     global_buffer
      - .offset:         24
        .size:           4
        .value_kind:     by_value
    .group_segment_fixed_size: 4096
    .kernarg_segment_align: 8
    .kernarg_segment_size: 28
    .language:       OpenCL C
    .language_version:
      - 2
      - 0
    .max_flat_workgroup_size: 256
    .name:           _Z6kernelI27subtract_right_partial_tileLj256ELj8ELb1EJPdPiS1_jEEvDpT3_
    .private_segment_fixed_size: 0
    .sgpr_count:     18
    .sgpr_spill_count: 0
    .symbol:         _Z6kernelI27subtract_right_partial_tileLj256ELj8ELb1EJPdPiS1_jEEvDpT3_.kd
    .uniform_work_group_size: 1
    .uses_dynamic_stack: false
    .vgpr_count:     44
    .vgpr_spill_count: 0
    .wavefront_size: 64
  - .agpr_count:     0
    .args:
      - .address_space:  global
        .offset:         0
        .size:           8
        .value_kind:     global_buffer
      - .address_space:  global
        .offset:         8
        .size:           8
        .value_kind:     global_buffer
      - .address_space:  global
        .offset:         16
        .size:           8
        .value_kind:     global_buffer
      - .offset:         24
        .size:           4
        .value_kind:     by_value
    .group_segment_fixed_size: 4096
    .kernarg_segment_align: 8
    .kernarg_segment_size: 28
    .language:       OpenCL C
    .language_version:
      - 2
      - 0
    .max_flat_workgroup_size: 256
    .name:           _Z6kernelI27subtract_right_partial_tileLj256ELj16ELb1EJPdPiS1_jEEvDpT3_
    .private_segment_fixed_size: 0
    .sgpr_count:     18
    .sgpr_spill_count: 0
    .symbol:         _Z6kernelI27subtract_right_partial_tileLj256ELj16ELb1EJPdPiS1_jEEvDpT3_.kd
    .uniform_work_group_size: 1
    .uses_dynamic_stack: false
    .vgpr_count:     84
    .vgpr_spill_count: 0
    .wavefront_size: 64
  - .agpr_count:     0
    .args:
      - .address_space:  global
        .offset:         0
        .size:           8
        .value_kind:     global_buffer
      - .address_space:  global
        .offset:         8
        .size:           8
        .value_kind:     global_buffer
      - .address_space:  global
        .offset:         16
        .size:           8
        .value_kind:     global_buffer
      - .offset:         24
        .size:           4
        .value_kind:     by_value
    .group_segment_fixed_size: 4096
    .kernarg_segment_align: 8
    .kernarg_segment_size: 28
    .language:       OpenCL C
    .language_version:
      - 2
      - 0
    .max_flat_workgroup_size: 256
    .name:           _Z6kernelI27subtract_right_partial_tileLj256ELj32ELb1EJPdPiS1_jEEvDpT3_
    .private_segment_fixed_size: 0
    .sgpr_count:     18
    .sgpr_spill_count: 0
    .symbol:         _Z6kernelI27subtract_right_partial_tileLj256ELj32ELb1EJPdPiS1_jEEvDpT3_.kd
    .uniform_work_group_size: 1
    .uses_dynamic_stack: false
    .vgpr_count:     164
    .vgpr_spill_count: 0
    .wavefront_size: 64
amdhsa.target:   amdgcn-amd-amdhsa--gfx90a
amdhsa.version:
  - 1
  - 2
...

	.end_amdgpu_metadata
